;; amdgpu-corpus repo=ROCm/rocFFT kind=compiled arch=gfx1201 opt=O3
	.text
	.amdgcn_target "amdgcn-amd-amdhsa--gfx1201"
	.amdhsa_code_object_version 6
	.protected	fft_rtc_fwd_len1248_factors_2_2_13_2_3_2_2_wgs_52_tpt_52_halfLds_half_ip_CI_sbrr_dirReg ; -- Begin function fft_rtc_fwd_len1248_factors_2_2_13_2_3_2_2_wgs_52_tpt_52_halfLds_half_ip_CI_sbrr_dirReg
	.globl	fft_rtc_fwd_len1248_factors_2_2_13_2_3_2_2_wgs_52_tpt_52_halfLds_half_ip_CI_sbrr_dirReg
	.p2align	8
	.type	fft_rtc_fwd_len1248_factors_2_2_13_2_3_2_2_wgs_52_tpt_52_halfLds_half_ip_CI_sbrr_dirReg,@function
fft_rtc_fwd_len1248_factors_2_2_13_2_3_2_2_wgs_52_tpt_52_halfLds_half_ip_CI_sbrr_dirReg: ; @fft_rtc_fwd_len1248_factors_2_2_13_2_3_2_2_wgs_52_tpt_52_halfLds_half_ip_CI_sbrr_dirReg
; %bb.0:
	s_clause 0x2
	s_load_b64 s[12:13], s[0:1], 0x18
	s_load_b128 s[4:7], s[0:1], 0x0
	s_load_b64 s[10:11], s[0:1], 0x50
	v_mul_u32_u24_e32 v1, 0x4ed, v0
	v_mov_b32_e32 v3, 0
	s_delay_alu instid0(VALU_DEP_2) | instskip(NEXT) | instid1(VALU_DEP_1)
	v_lshrrev_b32_e32 v1, 16, v1
	v_add_nc_u32_e32 v5, ttmp9, v1
	v_mov_b32_e32 v1, 0
	v_mov_b32_e32 v2, 0
	;; [unrolled: 1-line block ×3, first 2 shown]
	s_wait_kmcnt 0x0
	s_load_b64 s[8:9], s[12:13], 0x0
	v_cmp_lt_u64_e64 s2, s[6:7], 2
	s_delay_alu instid0(VALU_DEP_1)
	s_and_b32 vcc_lo, exec_lo, s2
	s_cbranch_vccnz .LBB0_8
; %bb.1:
	s_load_b64 s[2:3], s[0:1], 0x10
	v_mov_b32_e32 v1, 0
	v_mov_b32_e32 v2, 0
	s_add_nc_u64 s[14:15], s[12:13], 8
	s_mov_b64 s[16:17], 1
	s_wait_kmcnt 0x0
	s_add_nc_u64 s[18:19], s[2:3], 8
	s_mov_b32 s3, 0
.LBB0_2:                                ; =>This Inner Loop Header: Depth=1
	s_load_b64 s[20:21], s[18:19], 0x0
                                        ; implicit-def: $vgpr7_vgpr8
	s_mov_b32 s2, exec_lo
	s_wait_kmcnt 0x0
	v_or_b32_e32 v4, s21, v6
	s_delay_alu instid0(VALU_DEP_1)
	v_cmpx_ne_u64_e32 0, v[3:4]
	s_wait_alu 0xfffe
	s_xor_b32 s22, exec_lo, s2
	s_cbranch_execz .LBB0_4
; %bb.3:                                ;   in Loop: Header=BB0_2 Depth=1
	s_cvt_f32_u32 s2, s20
	s_cvt_f32_u32 s23, s21
	s_sub_nc_u64 s[26:27], 0, s[20:21]
	s_wait_alu 0xfffe
	s_delay_alu instid0(SALU_CYCLE_1) | instskip(SKIP_1) | instid1(SALU_CYCLE_2)
	s_fmamk_f32 s2, s23, 0x4f800000, s2
	s_wait_alu 0xfffe
	v_s_rcp_f32 s2, s2
	s_delay_alu instid0(TRANS32_DEP_1) | instskip(SKIP_1) | instid1(SALU_CYCLE_2)
	s_mul_f32 s2, s2, 0x5f7ffffc
	s_wait_alu 0xfffe
	s_mul_f32 s23, s2, 0x2f800000
	s_wait_alu 0xfffe
	s_delay_alu instid0(SALU_CYCLE_2) | instskip(SKIP_1) | instid1(SALU_CYCLE_2)
	s_trunc_f32 s23, s23
	s_wait_alu 0xfffe
	s_fmamk_f32 s2, s23, 0xcf800000, s2
	s_cvt_u32_f32 s25, s23
	s_wait_alu 0xfffe
	s_delay_alu instid0(SALU_CYCLE_1) | instskip(SKIP_1) | instid1(SALU_CYCLE_2)
	s_cvt_u32_f32 s24, s2
	s_wait_alu 0xfffe
	s_mul_u64 s[28:29], s[26:27], s[24:25]
	s_wait_alu 0xfffe
	s_mul_hi_u32 s31, s24, s29
	s_mul_i32 s30, s24, s29
	s_mul_hi_u32 s2, s24, s28
	s_mul_i32 s33, s25, s28
	s_wait_alu 0xfffe
	s_add_nc_u64 s[30:31], s[2:3], s[30:31]
	s_mul_hi_u32 s23, s25, s28
	s_mul_hi_u32 s34, s25, s29
	s_add_co_u32 s2, s30, s33
	s_wait_alu 0xfffe
	s_add_co_ci_u32 s2, s31, s23
	s_mul_i32 s28, s25, s29
	s_add_co_ci_u32 s29, s34, 0
	s_wait_alu 0xfffe
	s_add_nc_u64 s[28:29], s[2:3], s[28:29]
	s_wait_alu 0xfffe
	v_add_co_u32 v4, s2, s24, s28
	s_delay_alu instid0(VALU_DEP_1) | instskip(SKIP_1) | instid1(VALU_DEP_1)
	s_cmp_lg_u32 s2, 0
	s_add_co_ci_u32 s25, s25, s29
	v_readfirstlane_b32 s24, v4
	s_wait_alu 0xfffe
	s_delay_alu instid0(VALU_DEP_1)
	s_mul_u64 s[26:27], s[26:27], s[24:25]
	s_wait_alu 0xfffe
	s_mul_hi_u32 s29, s24, s27
	s_mul_i32 s28, s24, s27
	s_mul_hi_u32 s2, s24, s26
	s_mul_i32 s30, s25, s26
	s_wait_alu 0xfffe
	s_add_nc_u64 s[28:29], s[2:3], s[28:29]
	s_mul_hi_u32 s23, s25, s26
	s_mul_hi_u32 s24, s25, s27
	s_wait_alu 0xfffe
	s_add_co_u32 s2, s28, s30
	s_add_co_ci_u32 s2, s29, s23
	s_mul_i32 s26, s25, s27
	s_add_co_ci_u32 s27, s24, 0
	s_wait_alu 0xfffe
	s_add_nc_u64 s[26:27], s[2:3], s[26:27]
	s_wait_alu 0xfffe
	v_add_co_u32 v4, s2, v4, s26
	s_delay_alu instid0(VALU_DEP_1) | instskip(SKIP_1) | instid1(VALU_DEP_1)
	s_cmp_lg_u32 s2, 0
	s_add_co_ci_u32 s2, s25, s27
	v_mul_hi_u32 v13, v5, v4
	s_wait_alu 0xfffe
	v_mad_co_u64_u32 v[7:8], null, v5, s2, 0
	v_mad_co_u64_u32 v[9:10], null, v6, v4, 0
	;; [unrolled: 1-line block ×3, first 2 shown]
	s_delay_alu instid0(VALU_DEP_3) | instskip(SKIP_1) | instid1(VALU_DEP_4)
	v_add_co_u32 v4, vcc_lo, v13, v7
	s_wait_alu 0xfffd
	v_add_co_ci_u32_e32 v7, vcc_lo, 0, v8, vcc_lo
	s_delay_alu instid0(VALU_DEP_2) | instskip(SKIP_1) | instid1(VALU_DEP_2)
	v_add_co_u32 v4, vcc_lo, v4, v9
	s_wait_alu 0xfffd
	v_add_co_ci_u32_e32 v4, vcc_lo, v7, v10, vcc_lo
	s_wait_alu 0xfffd
	v_add_co_ci_u32_e32 v7, vcc_lo, 0, v12, vcc_lo
	s_delay_alu instid0(VALU_DEP_2) | instskip(SKIP_1) | instid1(VALU_DEP_2)
	v_add_co_u32 v4, vcc_lo, v4, v11
	s_wait_alu 0xfffd
	v_add_co_ci_u32_e32 v9, vcc_lo, 0, v7, vcc_lo
	s_delay_alu instid0(VALU_DEP_2) | instskip(SKIP_1) | instid1(VALU_DEP_3)
	v_mul_lo_u32 v10, s21, v4
	v_mad_co_u64_u32 v[7:8], null, s20, v4, 0
	v_mul_lo_u32 v11, s20, v9
	s_delay_alu instid0(VALU_DEP_2) | instskip(NEXT) | instid1(VALU_DEP_2)
	v_sub_co_u32 v7, vcc_lo, v5, v7
	v_add3_u32 v8, v8, v11, v10
	s_delay_alu instid0(VALU_DEP_1) | instskip(SKIP_1) | instid1(VALU_DEP_1)
	v_sub_nc_u32_e32 v10, v6, v8
	s_wait_alu 0xfffd
	v_subrev_co_ci_u32_e64 v10, s2, s21, v10, vcc_lo
	v_add_co_u32 v11, s2, v4, 2
	s_wait_alu 0xf1ff
	v_add_co_ci_u32_e64 v12, s2, 0, v9, s2
	v_sub_co_u32 v13, s2, v7, s20
	v_sub_co_ci_u32_e32 v8, vcc_lo, v6, v8, vcc_lo
	s_wait_alu 0xf1ff
	v_subrev_co_ci_u32_e64 v10, s2, 0, v10, s2
	s_delay_alu instid0(VALU_DEP_3) | instskip(NEXT) | instid1(VALU_DEP_3)
	v_cmp_le_u32_e32 vcc_lo, s20, v13
	v_cmp_eq_u32_e64 s2, s21, v8
	s_wait_alu 0xfffd
	v_cndmask_b32_e64 v13, 0, -1, vcc_lo
	v_cmp_le_u32_e32 vcc_lo, s21, v10
	s_wait_alu 0xfffd
	v_cndmask_b32_e64 v14, 0, -1, vcc_lo
	v_cmp_le_u32_e32 vcc_lo, s20, v7
	;; [unrolled: 3-line block ×3, first 2 shown]
	s_wait_alu 0xfffd
	v_cndmask_b32_e64 v15, 0, -1, vcc_lo
	v_cmp_eq_u32_e32 vcc_lo, s21, v10
	s_wait_alu 0xf1ff
	s_delay_alu instid0(VALU_DEP_2)
	v_cndmask_b32_e64 v7, v15, v7, s2
	s_wait_alu 0xfffd
	v_cndmask_b32_e32 v10, v14, v13, vcc_lo
	v_add_co_u32 v13, vcc_lo, v4, 1
	s_wait_alu 0xfffd
	v_add_co_ci_u32_e32 v14, vcc_lo, 0, v9, vcc_lo
	s_delay_alu instid0(VALU_DEP_3) | instskip(SKIP_2) | instid1(VALU_DEP_3)
	v_cmp_ne_u32_e32 vcc_lo, 0, v10
	s_wait_alu 0xfffd
	v_cndmask_b32_e32 v10, v13, v11, vcc_lo
	v_cndmask_b32_e32 v8, v14, v12, vcc_lo
	v_cmp_ne_u32_e32 vcc_lo, 0, v7
	s_wait_alu 0xfffd
	s_delay_alu instid0(VALU_DEP_2)
	v_dual_cndmask_b32 v7, v4, v10 :: v_dual_cndmask_b32 v8, v9, v8
.LBB0_4:                                ;   in Loop: Header=BB0_2 Depth=1
	s_wait_alu 0xfffe
	s_and_not1_saveexec_b32 s2, s22
	s_cbranch_execz .LBB0_6
; %bb.5:                                ;   in Loop: Header=BB0_2 Depth=1
	v_cvt_f32_u32_e32 v4, s20
	s_sub_co_i32 s22, 0, s20
	s_delay_alu instid0(VALU_DEP_1) | instskip(NEXT) | instid1(TRANS32_DEP_1)
	v_rcp_iflag_f32_e32 v4, v4
	v_mul_f32_e32 v4, 0x4f7ffffe, v4
	s_delay_alu instid0(VALU_DEP_1) | instskip(SKIP_1) | instid1(VALU_DEP_1)
	v_cvt_u32_f32_e32 v4, v4
	s_wait_alu 0xfffe
	v_mul_lo_u32 v7, s22, v4
	s_delay_alu instid0(VALU_DEP_1) | instskip(NEXT) | instid1(VALU_DEP_1)
	v_mul_hi_u32 v7, v4, v7
	v_add_nc_u32_e32 v4, v4, v7
	s_delay_alu instid0(VALU_DEP_1) | instskip(NEXT) | instid1(VALU_DEP_1)
	v_mul_hi_u32 v4, v5, v4
	v_mul_lo_u32 v7, v4, s20
	v_add_nc_u32_e32 v8, 1, v4
	s_delay_alu instid0(VALU_DEP_2) | instskip(NEXT) | instid1(VALU_DEP_1)
	v_sub_nc_u32_e32 v7, v5, v7
	v_subrev_nc_u32_e32 v9, s20, v7
	v_cmp_le_u32_e32 vcc_lo, s20, v7
	s_wait_alu 0xfffd
	s_delay_alu instid0(VALU_DEP_2) | instskip(NEXT) | instid1(VALU_DEP_1)
	v_dual_cndmask_b32 v7, v7, v9 :: v_dual_cndmask_b32 v4, v4, v8
	v_cmp_le_u32_e32 vcc_lo, s20, v7
	s_delay_alu instid0(VALU_DEP_2) | instskip(SKIP_1) | instid1(VALU_DEP_1)
	v_add_nc_u32_e32 v8, 1, v4
	s_wait_alu 0xfffd
	v_dual_cndmask_b32 v7, v4, v8 :: v_dual_mov_b32 v8, v3
.LBB0_6:                                ;   in Loop: Header=BB0_2 Depth=1
	s_wait_alu 0xfffe
	s_or_b32 exec_lo, exec_lo, s2
	s_load_b64 s[22:23], s[14:15], 0x0
	s_delay_alu instid0(VALU_DEP_1)
	v_mul_lo_u32 v4, v8, s20
	v_mul_lo_u32 v11, v7, s21
	v_mad_co_u64_u32 v[9:10], null, v7, s20, 0
	s_add_nc_u64 s[16:17], s[16:17], 1
	s_add_nc_u64 s[14:15], s[14:15], 8
	s_wait_alu 0xfffe
	v_cmp_ge_u64_e64 s2, s[16:17], s[6:7]
	s_add_nc_u64 s[18:19], s[18:19], 8
	s_delay_alu instid0(VALU_DEP_2) | instskip(NEXT) | instid1(VALU_DEP_3)
	v_add3_u32 v4, v10, v11, v4
	v_sub_co_u32 v5, vcc_lo, v5, v9
	s_wait_alu 0xfffd
	s_delay_alu instid0(VALU_DEP_2) | instskip(SKIP_3) | instid1(VALU_DEP_2)
	v_sub_co_ci_u32_e32 v4, vcc_lo, v6, v4, vcc_lo
	s_and_b32 vcc_lo, exec_lo, s2
	s_wait_kmcnt 0x0
	v_mul_lo_u32 v6, s23, v5
	v_mul_lo_u32 v4, s22, v4
	v_mad_co_u64_u32 v[1:2], null, s22, v5, v[1:2]
	s_delay_alu instid0(VALU_DEP_1)
	v_add3_u32 v2, v6, v2, v4
	s_wait_alu 0xfffe
	s_cbranch_vccnz .LBB0_9
; %bb.7:                                ;   in Loop: Header=BB0_2 Depth=1
	v_dual_mov_b32 v5, v7 :: v_dual_mov_b32 v6, v8
	s_branch .LBB0_2
.LBB0_8:
	v_dual_mov_b32 v8, v6 :: v_dual_mov_b32 v7, v5
.LBB0_9:
	s_lshl_b64 s[2:3], s[6:7], 3
	v_mul_hi_u32 v3, 0x4ec4ec5, v0
	s_wait_alu 0xfffe
	s_add_nc_u64 s[2:3], s[12:13], s[2:3]
	s_load_b64 s[0:1], s[0:1], 0x20
	s_load_b64 s[2:3], s[2:3], 0x0
                                        ; implicit-def: $vgpr23
                                        ; implicit-def: $vgpr21
                                        ; implicit-def: $vgpr19
                                        ; implicit-def: $vgpr17
                                        ; implicit-def: $vgpr15
                                        ; implicit-def: $vgpr6
                                        ; implicit-def: $vgpr10
                                        ; implicit-def: $vgpr12
                                        ; implicit-def: $vgpr14
	s_delay_alu instid0(VALU_DEP_1) | instskip(NEXT) | instid1(VALU_DEP_1)
	v_mul_u32_u24_e32 v3, 52, v3
	v_sub_nc_u32_e32 v0, v0, v3
	s_delay_alu instid0(VALU_DEP_1)
	v_add_nc_u32_e32 v42, 52, v0
	v_add_nc_u32_e32 v41, 0x68, v0
	;; [unrolled: 1-line block ×4, first 2 shown]
	s_wait_kmcnt 0x0
	v_cmp_gt_u64_e32 vcc_lo, s[0:1], v[7:8]
	v_mul_lo_u32 v3, s2, v8
	v_mul_lo_u32 v4, s3, v7
	v_mad_co_u64_u32 v[1:2], null, s2, v7, v[1:2]
	v_cmp_le_u64_e64 s0, s[0:1], v[7:8]
	v_add_nc_u32_e32 v36, 0x104, v0
	v_add_nc_u32_e32 v40, 0x138, v0
	;; [unrolled: 1-line block ×6, first 2 shown]
	v_add3_u32 v2, v4, v2, v3
	v_add_nc_u32_e32 v30, 0x23c, v0
                                        ; implicit-def: $sgpr2
                                        ; implicit-def: $vgpr4
                                        ; implicit-def: $vgpr8
	s_and_saveexec_b32 s1, s0
	s_wait_alu 0xfffe
	s_xor_b32 s0, exec_lo, s1
	s_cbranch_execz .LBB0_11
; %bb.10:
	v_add_nc_u32_e32 v23, 52, v0
	v_add_nc_u32_e32 v21, 0x68, v0
	;; [unrolled: 1-line block ×11, first 2 shown]
	s_mov_b32 s2, 0
.LBB0_11:
	s_wait_alu 0xfffe
	s_or_saveexec_b32 s1, s0
	v_lshlrev_b64_e32 v[2:3], 2, v[1:2]
	v_dual_mov_b32 v5, s2 :: v_dual_add_nc_u32 v48, 0x2a4, v0
	v_dual_mov_b32 v22, s2 :: v_dual_add_nc_u32 v49, 0x270, v0
	;; [unrolled: 1-line block ×4, first 2 shown]
	v_or_b32_e32 v45, 0x340, v0
	v_dual_mov_b32 v25, s2 :: v_dual_add_nc_u32 v44, 0x374, v0
	v_dual_mov_b32 v64, s2 :: v_dual_add_nc_u32 v43, 0x3a8, v0
	;; [unrolled: 1-line block ×4, first 2 shown]
	v_mov_b32_e32 v68, s2
	v_mov_b32_e32 v70, s2
	;; [unrolled: 1-line block ×4, first 2 shown]
                                        ; implicit-def: $vgpr50
                                        ; implicit-def: $vgpr11
                                        ; implicit-def: $vgpr77
                                        ; implicit-def: $vgpr9
                                        ; implicit-def: $vgpr88
                                        ; implicit-def: $vgpr7
                                        ; implicit-def: $vgpr84
                                        ; implicit-def: $vgpr1
                                        ; implicit-def: $vgpr85
                                        ; implicit-def: $vgpr18
                                        ; implicit-def: $vgpr86
                                        ; implicit-def: $vgpr16
                                        ; implicit-def: $vgpr87
                                        ; implicit-def: $vgpr13
                                        ; implicit-def: $vgpr82
                                        ; implicit-def: $vgpr20
                                        ; implicit-def: $vgpr79
                                        ; implicit-def: $vgpr24
                                        ; implicit-def: $vgpr80
                                        ; implicit-def: $vgpr26
                                        ; implicit-def: $vgpr81
                                        ; implicit-def: $vgpr27
                                        ; implicit-def: $vgpr83
                                        ; implicit-def: $vgpr28
	s_wait_alu 0xfffe
	s_xor_b32 exec_lo, exec_lo, s1
	s_cbranch_execz .LBB0_13
; %bb.12:
	v_mad_co_u64_u32 v[4:5], null, s8, v0, 0
	v_mad_co_u64_u32 v[6:7], null, s8, v49, 0
	;; [unrolled: 1-line block ×3, first 2 shown]
	v_add_co_u32 v65, s0, s10, v2
	s_delay_alu instid0(VALU_DEP_4)
	v_mov_b32_e32 v1, v5
	s_wait_alu 0xf1ff
	v_add_co_ci_u32_e64 v71, s0, s11, v3, s0
	v_mov_b32_e32 v5, v7
	v_mad_co_u64_u32 v[54:55], null, s8, v38, 0
	v_mad_co_u64_u32 v[10:11], null, s9, v0, v[1:2]
	;; [unrolled: 1-line block ×3, first 2 shown]
	v_mov_b32_e32 v1, v9
	v_mad_co_u64_u32 v[13:14], null, s9, v49, v[5:6]
	v_mad_co_u64_u32 v[56:57], null, s8, v33, 0
	s_delay_alu instid0(VALU_DEP_3)
	v_mad_co_u64_u32 v[14:15], null, s9, v42, v[1:2]
	v_mad_co_u64_u32 v[15:16], null, s8, v41, 0
	v_mov_b32_e32 v1, v12
	v_mov_b32_e32 v5, v10
	;; [unrolled: 1-line block ×3, first 2 shown]
	v_mad_co_u64_u32 v[58:59], null, s8, v34, 0
	s_delay_alu instid0(VALU_DEP_4)
	v_mad_co_u64_u32 v[12:13], null, s9, v48, v[1:2]
	v_mov_b32_e32 v9, v14
	v_mad_co_u64_u32 v[13:14], null, s8, v47, 0
	v_lshlrev_b64_e32 v[4:5], 2, v[4:5]
	v_mov_b32_e32 v1, v16
	v_lshlrev_b64_e32 v[6:7], 2, v[6:7]
	v_lshlrev_b64_e32 v[8:9], 2, v[8:9]
	;; [unrolled: 1-line block ×3, first 2 shown]
	v_mad_co_u64_u32 v[67:68], null, s8, v30, 0
	v_add_co_u32 v4, s0, v65, v4
	v_mad_co_u64_u32 v[16:17], null, s9, v41, v[1:2]
	v_mov_b32_e32 v1, v14
	v_mad_co_u64_u32 v[17:18], null, s8, v39, 0
	s_wait_alu 0xf1ff
	v_add_co_ci_u32_e64 v5, s0, v71, v5, s0
	v_add_co_u32 v6, s0, v65, v6
	s_wait_alu 0xf1ff
	v_add_co_ci_u32_e64 v7, s0, v71, v7, s0
	v_add_co_u32 v8, s0, v65, v8
	v_mad_co_u64_u32 v[19:20], null, s9, v47, v[1:2]
	s_wait_alu 0xf1ff
	v_add_co_ci_u32_e64 v9, s0, v71, v9, s0
	v_mov_b32_e32 v1, v18
	v_mad_co_u64_u32 v[20:21], null, s8, v46, 0
	v_add_co_u32 v22, s0, v65, v10
	s_wait_alu 0xf1ff
	v_add_co_ci_u32_e64 v23, s0, v71, v11, s0
	v_lshlrev_b64_e32 v[10:11], 2, v[15:16]
	v_mov_b32_e32 v14, v19
	v_mad_co_u64_u32 v[15:16], null, s9, v39, v[1:2]
	v_mov_b32_e32 v1, v21
	s_delay_alu instid0(VALU_DEP_4)
	v_add_co_u32 v24, s0, v65, v10
	s_wait_alu 0xf1ff
	v_add_co_ci_u32_e64 v25, s0, v71, v11, s0
	v_lshlrev_b64_e32 v[10:11], 2, v[13:14]
	v_mad_co_u64_u32 v[12:13], null, s9, v46, v[1:2]
	v_mov_b32_e32 v18, v15
	v_mad_co_u64_u32 v[13:14], null, s8, v37, 0
	s_delay_alu instid0(VALU_DEP_4)
	v_add_co_u32 v15, s0, v65, v10
	s_wait_alu 0xf1ff
	v_add_co_ci_u32_e64 v16, s0, v71, v11, s0
	v_lshlrev_b64_e32 v[10:11], 2, v[17:18]
	v_mov_b32_e32 v21, v12
	v_mad_co_u64_u32 v[17:18], null, s8, v45, 0
	v_mov_b32_e32 v1, v14
	s_delay_alu instid0(VALU_DEP_4)
	v_add_co_u32 v26, s0, v65, v10
	s_wait_alu 0xf1ff
	v_add_co_ci_u32_e64 v27, s0, v71, v11, s0
	v_lshlrev_b64_e32 v[10:11], 2, v[20:21]
	v_mad_co_u64_u32 v[19:20], null, s9, v37, v[1:2]
	v_mov_b32_e32 v1, v18
	v_mad_co_u64_u32 v[20:21], null, s8, v36, 0
	s_delay_alu instid0(VALU_DEP_4)
	v_add_co_u32 v50, s0, v65, v10
	s_wait_alu 0xf1ff
	v_add_co_ci_u32_e64 v51, s0, v71, v11, s0
	v_mad_co_u64_u32 v[10:11], null, s9, v45, v[1:2]
	s_clause 0x7
	global_load_b32 v5, v[4:5], off
	global_load_b32 v11, v[6:7], off
	;; [unrolled: 1-line block ×8, first 2 shown]
	v_mov_b32_e32 v14, v19
	v_mov_b32_e32 v12, v21
	v_mad_co_u64_u32 v[23:24], null, s8, v44, 0
	v_mad_co_u64_u32 v[26:27], null, s8, v40, 0
	s_delay_alu instid0(VALU_DEP_4)
	v_lshlrev_b64_e32 v[13:14], 2, v[13:14]
	v_mov_b32_e32 v18, v10
	v_add_nc_u32_e32 v8, 0x478, v0
	v_add_nc_u32_e32 v10, 0x4ac, v0
	v_mov_b32_e32 v4, v24
	v_mad_co_u64_u32 v[15:16], null, s9, v36, v[12:13]
	v_add_co_u32 v12, s0, v65, v13
	s_wait_alu 0xf1ff
	v_add_co_ci_u32_e64 v13, s0, v71, v14, s0
	v_lshlrev_b64_e32 v[16:17], 2, v[17:18]
	v_mad_co_u64_u32 v[60:61], null, s8, v10, 0
	v_mov_b32_e32 v21, v15
	v_mad_co_u64_u32 v[14:15], null, s8, v43, 0
	s_delay_alu instid0(VALU_DEP_4) | instskip(SKIP_2) | instid1(VALU_DEP_3)
	v_add_co_u32 v16, s0, v65, v16
	s_wait_alu 0xf1ff
	v_add_co_ci_u32_e64 v17, s0, v71, v17, s0
	v_mov_b32_e32 v6, v15
	s_wait_loadcnt 0x7
	v_mad_co_u64_u32 v[18:19], null, s9, v44, v[4:5]
	v_mov_b32_e32 v4, v27
	v_lshlrev_b64_e32 v[19:20], 2, v[20:21]
	s_wait_loadcnt 0x4
	v_lshrrev_b32_e32 v77, 16, v9
	s_wait_loadcnt 0x2
	v_mad_co_u64_u32 v[50:51], null, s9, v43, v[6:7]
	v_mad_co_u64_u32 v[27:28], null, s9, v40, v[4:5]
	v_mov_b32_e32 v24, v18
	v_add_co_u32 v19, s0, v65, v19
	s_wait_alu 0xf1ff
	v_add_co_ci_u32_e64 v20, s0, v71, v20, s0
	v_mov_b32_e32 v15, v50
	v_mad_co_u64_u32 v[50:51], null, s8, v35, 0
	v_lshlrev_b64_e32 v[23:24], 2, v[23:24]
	v_lshlrev_b64_e32 v[26:27], 2, v[26:27]
	s_delay_alu instid0(VALU_DEP_4)
	v_lshlrev_b64_e32 v[14:15], 2, v[14:15]
	v_mov_b32_e32 v6, v59
	v_lshrrev_b32_e32 v88, 16, v7
	s_wait_loadcnt 0x0
	v_lshrrev_b32_e32 v84, 16, v1
	v_mov_b32_e32 v4, v51
	v_add_co_u32 v23, s0, v65, v23
	s_wait_alu 0xf1ff
	v_add_co_ci_u32_e64 v24, s0, v71, v24, s0
	s_delay_alu instid0(VALU_DEP_3) | instskip(SKIP_4) | instid1(VALU_DEP_3)
	v_mad_co_u64_u32 v[51:52], null, s9, v35, v[4:5]
	v_mov_b32_e32 v4, v55
	v_add_co_u32 v26, s0, v65, v26
	s_wait_alu 0xf1ff
	v_add_co_ci_u32_e64 v27, s0, v71, v27, s0
	v_mad_co_u64_u32 v[52:53], null, s9, v38, v[4:5]
	v_mov_b32_e32 v4, v57
	v_add_co_u32 v14, s0, v65, v14
	s_wait_alu 0xf1ff
	v_add_co_ci_u32_e64 v15, s0, v71, v15, s0
	s_clause 0x5
	global_load_b32 v66, v[12:13], off
	global_load_b32 v18, v[16:17], off
	;; [unrolled: 1-line block ×6, first 2 shown]
	v_lshlrev_b64_e32 v[14:15], 2, v[50:51]
	v_mad_co_u64_u32 v[19:20], null, s9, v33, v[4:5]
	v_mov_b32_e32 v55, v52
	v_mad_co_u64_u32 v[23:24], null, s9, v34, v[6:7]
	v_add_nc_u32_e32 v6, 0x444, v0
	v_mad_co_u64_u32 v[26:27], null, s8, v32, 0
	v_add_co_u32 v14, s0, v65, v14
	v_lshlrev_b64_e32 v[20:21], 2, v[54:55]
	s_wait_alu 0xf1ff
	v_add_co_ci_u32_e64 v15, s0, v71, v15, s0
	v_mov_b32_e32 v57, v19
	v_mad_co_u64_u32 v[50:51], null, s8, v6, 0
	v_mov_b32_e32 v4, v27
	v_add_co_u32 v54, s0, v65, v20
	global_load_b32 v20, v[14:15], off
	v_lshlrev_b64_e32 v[14:15], 2, v[56:57]
	v_mad_co_u64_u32 v[56:57], null, s8, v31, 0
	v_mov_b32_e32 v59, v23
	v_mad_co_u64_u32 v[27:28], null, s9, v32, v[4:5]
	v_mov_b32_e32 v4, v51
	s_wait_alu 0xf1ff
	v_add_co_ci_u32_e64 v55, s0, v71, v21, s0
	v_add_co_u32 v14, s0, v65, v14
	s_delay_alu instid0(VALU_DEP_3)
	v_mad_co_u64_u32 v[51:52], null, s9, v6, v[4:5]
	v_mov_b32_e32 v4, v57
	v_lshlrev_b64_e32 v[23:24], 2, v[58:59]
	v_mad_co_u64_u32 v[58:59], null, s8, v8, 0
	s_wait_alu 0xf1ff
	v_add_co_ci_u32_e64 v15, s0, v71, v15, s0
	v_mad_co_u64_u32 v[62:63], null, s9, v31, v[4:5]
	v_lshlrev_b64_e32 v[50:51], 2, v[50:51]
	v_add_co_u32 v23, s0, v65, v23
	v_mov_b32_e32 v6, v59
	v_lshlrev_b64_e32 v[26:27], 2, v[26:27]
	s_wait_alu 0xf1ff
	v_add_co_ci_u32_e64 v24, s0, v71, v24, s0
	v_mov_b32_e32 v57, v62
	v_mad_co_u64_u32 v[69:70], null, s9, v8, v[6:7]
	v_mov_b32_e32 v4, v61
	v_mov_b32_e32 v6, v68
	v_add_co_u32 v50, s0, v65, v50
	s_wait_alu 0xf1ff
	v_add_co_ci_u32_e64 v51, s0, v71, v51, s0
	v_mov_b32_e32 v59, v69
	v_mad_co_u64_u32 v[61:62], null, s9, v10, v[4:5]
	v_mad_co_u64_u32 v[62:63], null, s9, v30, v[6:7]
	v_add_co_u32 v69, s0, v65, v26
	s_wait_alu 0xf1ff
	v_add_co_ci_u32_e64 v70, s0, v71, v27, s0
	v_lshlrev_b64_e32 v[27:28], 2, v[58:59]
	s_clause 0x1
	global_load_b32 v24, v[23:24], off
	global_load_b32 v26, v[50:51], off
	v_lshlrev_b64_e32 v[50:51], 2, v[56:57]
	v_lshlrev_b64_e32 v[56:57], 2, v[60:61]
	v_dual_mov_b32 v68, v62 :: v_dual_mov_b32 v17, v37
	v_add_co_u32 v27, s0, v65, v27
	s_wait_alu 0xf1ff
	v_add_co_ci_u32_e64 v28, s0, v71, v28, s0
	s_delay_alu instid0(VALU_DEP_3)
	v_lshlrev_b64_e32 v[58:59], 2, v[67:68]
	v_add_co_u32 v56, s0, v65, v56
	s_wait_alu 0xf1ff
	v_add_co_ci_u32_e64 v57, s0, v71, v57, s0
	v_add_co_u32 v50, s0, v65, v50
	s_wait_alu 0xf1ff
	v_add_co_ci_u32_e64 v51, s0, v71, v51, s0
	s_clause 0x1
	global_load_b32 v27, v[27:28], off
	global_load_b32 v28, v[56:57], off
	v_add_co_u32 v56, s0, v65, v58
	s_wait_alu 0xf1ff
	v_add_co_ci_u32_e64 v57, s0, v71, v59, s0
	s_clause 0x4
	global_load_b32 v78, v[54:55], off
	global_load_b32 v68, v[14:15], off
	;; [unrolled: 1-line block ×5, first 2 shown]
	v_dual_mov_b32 v14, v30 :: v_dual_mov_b32 v19, v39
	v_dual_mov_b32 v12, v31 :: v_dual_mov_b32 v21, v41
	;; [unrolled: 1-line block ×3, first 2 shown]
	v_mov_b32_e32 v8, v33
	v_mov_b32_e32 v6, v38
	v_dual_mov_b32 v4, v40 :: v_dual_mov_b32 v15, v36
	v_lshrrev_b32_e32 v50, 16, v11
	s_wait_loadcnt 0xe
	v_lshrrev_b32_e32 v85, 16, v18
	s_wait_loadcnt 0xc
	;; [unrolled: 2-line block ×8, first 2 shown]
	v_lshrrev_b32_e32 v83, 16, v28
.LBB0_13:
	s_or_b32 exec_lo, exec_lo, s1
	v_lshrrev_b32_e32 v51, 16, v5
	v_sub_f16_e32 v11, v5, v11
	v_sub_f16_e32 v9, v29, v9
	;; [unrolled: 1-line block ×7, first 2 shown]
	v_fma_f16 v5, v5, 2.0, -v11
	v_fma_f16 v50, v29, 2.0, -v9
	;; [unrolled: 1-line block ×4, first 2 shown]
	v_sub_f16_e32 v13, v53, v13
	v_fma_f16 v52, v22, 2.0, -v1
	v_fma_f16 v54, v66, 2.0, -v18
	;; [unrolled: 1-line block ×3, first 2 shown]
	s_wait_loadcnt 0x4
	v_sub_f16_e32 v20, v78, v20
	s_wait_loadcnt 0x3
	v_sub_f16_e32 v57, v68, v24
	v_lshl_add_u32 v89, v0, 2, 0
	v_pack_b32_f16 v5, v5, v11
	v_lshl_add_u32 v90, v23, 2, 0
	v_pack_b32_f16 v9, v50, v9
	;; [unrolled: 2-line block ×3, first 2 shown]
	v_fma_f16 v56, v53, 2.0, -v13
	s_wait_loadcnt 0x2
	v_sub_f16_e32 v59, v70, v26
	s_wait_loadcnt 0x1
	v_sub_f16_e32 v60, v72, v27
	v_fma_f16 v58, v78, 2.0, -v20
	v_fma_f16 v63, v68, 2.0, -v57
	ds_store_b32 v89, v5
	ds_store_b32 v90, v9
	;; [unrolled: 1-line block ×3, first 2 shown]
	v_lshl_add_u32 v11, v19, 2, 0
	v_pack_b32_f16 v5, v52, v1
	v_lshl_add_u32 v1, v17, 2, 0
	v_pack_b32_f16 v9, v54, v18
	v_lshl_add_u32 v7, v15, 2, 0
	v_pack_b32_f16 v16, v55, v16
	v_lshrrev_b32_e32 v25, 16, v25
	s_wait_loadcnt 0x0
	v_sub_f16_e32 v62, v74, v28
	v_lshrrev_b32_e32 v96, 16, v29
	v_fma_f16 v65, v70, 2.0, -v59
	v_fma_f16 v67, v72, 2.0, -v60
	ds_store_b32 v11, v5
	ds_store_b32 v1, v9
	;; [unrolled: 1-line block ×3, first 2 shown]
	v_lshl_add_u32 v16, v4, 2, 0
	v_pack_b32_f16 v13, v56, v13
	v_lshl_add_u32 v5, v6, 2, 0
	v_pack_b32_f16 v18, v58, v20
	;; [unrolled: 2-line block ×3, first 2 shown]
	v_sub_f16_e32 v88, v25, v88
	v_lshrrev_b32_e32 v22, 16, v22
	v_lshrrev_b32_e32 v66, 16, v66
	v_fma_f16 v69, v74, 2.0, -v62
	v_sub_f16_e32 v99, v96, v77
	v_lshrrev_b32_e32 v64, 16, v64
	v_lshrrev_b32_e32 v53, 16, v53
	v_lshlrev_b32_e32 v26, 1, v0
	v_lshlrev_b32_e32 v92, 1, v21
	;; [unrolled: 1-line block ×4, first 2 shown]
	ds_store_b32 v16, v13
	ds_store_b32 v5, v18
	;; [unrolled: 1-line block ×3, first 2 shown]
	v_lshl_add_u32 v18, v10, 2, 0
	v_pack_b32_f16 v50, v65, v59
	v_lshl_add_u32 v20, v12, 2, 0
	v_pack_b32_f16 v51, v67, v60
	v_fma_f16 v25, v25, 2.0, -v88
	v_sub_f16_e32 v84, v22, v84
	v_sub_f16_e32 v85, v66, v85
	v_lshlrev_b32_e32 v24, 1, v23
	v_lshlrev_b32_e32 v27, 1, v15
	v_lshl_add_u32 v13, v14, 2, 0
	v_pack_b32_f16 v52, v69, v62
	v_fma_f16 v96, v96, 2.0, -v99
	v_lshlrev_b32_e32 v55, 1, v4
	v_sub_f16_e32 v86, v64, v86
	v_lshlrev_b32_e32 v56, 1, v6
	v_sub_f16_e32 v87, v53, v87
	v_lshlrev_b32_e32 v57, 1, v8
	v_lshlrev_b32_e32 v58, 1, v10
	ds_store_b32 v18, v50
	v_lshlrev_b32_e32 v59, 1, v12
	ds_store_b32 v20, v51
	v_lshlrev_b32_e32 v60, 1, v14
	v_sub_nc_u32_e32 v93, v11, v28
	v_add_nc_u32_e32 v51, 0, v92
	v_add_nc_u32_e32 v50, 0, v26
	v_sub_nc_u32_e32 v97, v1, v61
	v_pack_b32_f16 v94, v75, v73
	v_pack_b32_f16 v25, v25, v88
	v_fma_f16 v22, v22, 2.0, -v84
	v_fma_f16 v66, v66, 2.0, -v85
	ds_store_b32 v13, v52
	v_add_nc_u32_e32 v52, 0, v24
	v_sub_nc_u32_e32 v98, v7, v27
	v_pack_b32_f16 v96, v96, v99
	v_sub_nc_u32_e32 v100, v16, v55
	v_fma_f16 v64, v64, 2.0, -v86
	v_sub_nc_u32_e32 v101, v5, v56
	v_fma_f16 v53, v53, 2.0, -v87
	v_sub_nc_u32_e32 v102, v9, v57
	global_wb scope:SCOPE_SE
	s_wait_dscnt 0x0
	s_barrier_signal -1
	s_barrier_wait -1
	global_inv scope:SCOPE_SE
	ds_load_u16 v95, v93
	ds_load_u16 v104, v50
	ds_load_u16 v71, v50 offset:1248
	ds_load_u16 v69, v50 offset:1352
	;; [unrolled: 1-line block ×7, first 2 shown]
	v_sub_nc_u32_e32 v103, v18, v58
	v_sub_nc_u32_e32 v105, v20, v59
	ds_load_u16 v76, v50 offset:1976
	ds_load_u16 v75, v50 offset:2080
	;; [unrolled: 1-line block ×4, first 2 shown]
	v_sub_nc_u32_e32 v107, v13, v60
	ds_load_u16 v108, v97
	ds_load_u16 v109, v98
	;; [unrolled: 1-line block ×10, first 2 shown]
	ds_load_u16 v77, v50 offset:2392
	global_wb scope:SCOPE_SE
	s_wait_dscnt 0x0
	s_barrier_signal -1
	s_barrier_wait -1
	global_inv scope:SCOPE_SE
	ds_store_b32 v89, v94
	ds_store_b32 v90, v96
	;; [unrolled: 1-line block ×3, first 2 shown]
	v_pack_b32_f16 v22, v22, v84
	v_pack_b32_f16 v25, v66, v85
	v_lshrrev_b32_e32 v66, 16, v78
	v_pack_b32_f16 v64, v64, v86
	v_pack_b32_f16 v53, v53, v87
	ds_store_b32 v11, v22
	ds_store_b32 v1, v25
	;; [unrolled: 1-line block ×4, first 2 shown]
	v_sub_f16_e32 v22, v66, v82
	v_lshrrev_b32_e32 v25, 16, v68
	v_lshrrev_b32_e32 v53, 16, v70
	;; [unrolled: 1-line block ×4, first 2 shown]
	v_fma_f16 v66, v66, 2.0, -v22
	v_sub_f16_e32 v70, v25, v79
	v_sub_f16_e32 v72, v53, v80
	;; [unrolled: 1-line block ×4, first 2 shown]
	v_pack_b32_f16 v22, v66, v22
	v_fma_f16 v25, v25, 2.0, -v70
	v_fma_f16 v53, v53, 2.0, -v72
	;; [unrolled: 1-line block ×4, first 2 shown]
	ds_store_b32 v5, v22
	v_pack_b32_f16 v22, v25, v70
	v_pack_b32_f16 v25, v53, v72
	;; [unrolled: 1-line block ×4, first 2 shown]
	v_and_b32_e32 v66, 1, v0
	ds_store_b32 v9, v22
	ds_store_b32 v18, v25
	;; [unrolled: 1-line block ×4, first 2 shown]
	global_wb scope:SCOPE_SE
	s_wait_dscnt 0x0
	s_barrier_signal -1
	s_barrier_wait -1
	v_lshlrev_b32_e32 v22, 2, v66
	global_inv scope:SCOPE_SE
	v_and_or_b32 v25, 0x7c, v26, v66
	v_and_or_b32 v53, 0xfc, v24, v66
	;; [unrolled: 1-line block ×3, first 2 shown]
	global_load_b32 v22, v22, s[4:5]
	v_and_or_b32 v68, 0x1fc, v28, v66
	v_lshl_add_u32 v99, v25, 1, 0
	ds_load_u16 v130, v50 offset:1248
	ds_load_u16 v131, v50 offset:1352
	;; [unrolled: 1-line block ×11, first 2 shown]
	ds_load_u16 v114, v93
	ds_load_u16 v115, v51
	;; [unrolled: 1-line block ×3, first 2 shown]
	ds_load_u16 v121, v50 offset:2392
	ds_load_u16 v116, v97
	ds_load_u16 v117, v98
	ds_load_u16 v118, v100
	ds_load_u16 v101, v101
	ds_load_u16 v102, v102
	ds_load_u16 v103, v103
	ds_load_u16 v106, v105
	ds_load_u16 v113, v107
	ds_load_u16 v122, v50
	v_and_or_b32 v70, 0x3fc, v61, v66
	v_and_or_b32 v72, 0x2fc, v27, v66
	v_and_or_b32 v74, 0x2fc, v55, v66
	v_and_or_b32 v78, 0x3fc, v56, v66
	v_and_or_b32 v79, 0x3fc, v57, v66
	v_and_or_b32 v80, 0x7fc, v58, v66
	v_and_or_b32 v81, 0x4fc, v59, v66
	v_and_or_b32 v66, 0x4fc, v60, v66
	v_lshl_add_u32 v96, v53, 1, 0
	v_lshl_add_u32 v94, v64, 1, 0
	;; [unrolled: 1-line block ×11, first 2 shown]
	global_wb scope:SCOPE_SE
	s_wait_loadcnt_dscnt 0x0
	s_barrier_signal -1
	s_barrier_wait -1
	global_inv scope:SCOPE_SE
	v_cmp_gt_u32_e64 s0, 44, v0
	v_lshrrev_b32_e32 v128, 16, v22
	s_delay_alu instid0(VALU_DEP_1)
	v_mul_f16_e64 v53, v130, v128
	v_mul_f16_e64 v64, v131, v128
	;; [unrolled: 1-line block ×12, first 2 shown]
	v_fma_f16 v53, v71, v22, -v53
	v_fma_f16 v64, v69, v22, -v64
	;; [unrolled: 1-line block ×12, first 2 shown]
	v_sub_f16_e32 v92, v104, v53
	v_sub_f16_e64 v93, v137, v64
	v_sub_f16_e64 v98, v136, v66
	v_sub_f16_e32 v100, v95, v68
	v_sub_f16_e32 v107, v109, v72
	;; [unrolled: 1-line block ×6, first 2 shown]
	v_sub_f16_e64 v64, v133, v87
	v_sub_f16_e64 v70, v134, v90
	;; [unrolled: 1-line block ×3, first 2 shown]
	v_fma_f16 v87, v104, 2.0, -v92
	v_fma_f16 v90, v137, 2.0, -v93
	;; [unrolled: 1-line block ×12, first 2 shown]
	ds_store_b16 v99, v87
	ds_store_b16 v99, v92 offset:4
	ds_store_b16 v96, v90
	ds_store_b16 v96, v93 offset:4
	;; [unrolled: 2-line block ×12, first 2 shown]
	global_wb scope:SCOPE_SE
	s_wait_dscnt 0x0
	s_barrier_signal -1
	s_barrier_wait -1
	global_inv scope:SCOPE_SE
	ds_load_u16 v87, v50
	ds_load_u16 v112, v50 offset:192
	ds_load_u16 v111, v50 offset:384
	;; [unrolled: 1-line block ×12, first 2 shown]
                                        ; implicit-def: $vgpr107
                                        ; implicit-def: $vgpr108
	s_and_saveexec_b32 s1, s0
	s_cbranch_execz .LBB0_15
; %bb.14:
	ds_load_u16 v78, v50 offset:296
	ds_load_u16 v68, v50 offset:488
	;; [unrolled: 1-line block ×11, first 2 shown]
	ds_load_u16 v53, v52
	ds_load_u16 v107, v50 offset:2408
.LBB0_15:
	s_wait_alu 0xfffe
	s_or_b32 exec_lo, exec_lo, s1
	v_mul_f16_e64 v69, v69, v128
	v_mul_f16_e64 v71, v71, v128
	;; [unrolled: 1-line block ×5, first 2 shown]
	v_fmac_f16_e64 v69, v131, v22
	v_mul_f16_e64 v62, v62, v128
	v_mul_f16_e64 v54, v54, v128
	v_fmac_f16_e64 v71, v130, v22
	v_fmac_f16_e64 v67, v132, v22
	;; [unrolled: 1-line block ×3, first 2 shown]
	v_mul_f16_e64 v76, v76, v128
	v_mul_f16_e64 v75, v75, v128
	v_fmac_f16_e32 v63, v124, v22
	v_fmac_f16_e32 v62, v125, v22
	;; [unrolled: 1-line block ×3, first 2 shown]
	v_mul_f16_e64 v73, v73, v128
	v_mul_f16_e64 v29, v29, v128
	;; [unrolled: 1-line block ×3, first 2 shown]
	v_sub_f16_e32 v69, v25, v69
	v_fmac_f16_e32 v76, v127, v22
	v_fmac_f16_e32 v75, v123, v22
	v_sub_f16_e32 v71, v122, v71
	v_fmac_f16_e32 v73, v119, v22
	v_fmac_f16_e32 v29, v120, v22
	;; [unrolled: 1-line block ×3, first 2 shown]
	v_fma_f16 v124, v25, 2.0, -v69
	v_sub_f16_e32 v67, v115, v67
	v_sub_f16_e32 v65, v114, v65
	;; [unrolled: 1-line block ×5, first 2 shown]
	v_fma_f16 v22, v122, 2.0, -v71
	v_fma_f16 v54, v115, 2.0, -v67
	;; [unrolled: 1-line block ×6, first 2 shown]
	v_sub_f16_e32 v114, v101, v76
	v_sub_f16_e32 v115, v102, v75
	;; [unrolled: 1-line block ×5, first 2 shown]
	v_fma_f16 v123, v101, 2.0, -v114
	v_fma_f16 v122, v102, 2.0, -v115
	v_fma_f16 v121, v103, 2.0, -v116
	v_fma_f16 v120, v106, 2.0, -v117
	v_fma_f16 v119, v113, 2.0, -v118
	global_wb scope:SCOPE_SE
	s_wait_dscnt 0x0
	s_barrier_signal -1
	s_barrier_wait -1
	global_inv scope:SCOPE_SE
	ds_store_b16 v99, v22
	ds_store_b16 v99, v71 offset:4
	ds_store_b16 v96, v124
	ds_store_b16 v96, v69 offset:4
	;; [unrolled: 2-line block ×12, first 2 shown]
	global_wb scope:SCOPE_SE
	s_wait_dscnt 0x0
	s_barrier_signal -1
	s_barrier_wait -1
	global_inv scope:SCOPE_SE
	ds_load_u16 v54, v50
	ds_load_u16 v137, v50 offset:192
	ds_load_u16 v136, v50 offset:384
	;; [unrolled: 1-line block ×12, first 2 shown]
                                        ; implicit-def: $vgpr127
                                        ; implicit-def: $vgpr129
	s_and_saveexec_b32 s1, s0
	s_cbranch_execz .LBB0_17
; %bb.16:
	ds_load_u16 v123, v50 offset:296
	ds_load_u16 v114, v50 offset:488
	;; [unrolled: 1-line block ×11, first 2 shown]
	ds_load_u16 v25, v52
	ds_load_u16 v127, v50 offset:2408
.LBB0_17:
	s_wait_alu 0xfffe
	s_or_b32 exec_lo, exec_lo, s1
	v_and_b32_e32 v22, 3, v0
	v_sub_nc_u32_e32 v88, 0, v55
	v_sub_nc_u32_e32 v84, 0, v57
	;; [unrolled: 1-line block ×4, first 2 shown]
	v_mul_u32_u24_e32 v29, 12, v22
	v_sub_nc_u32_e32 v83, 0, v58
	v_sub_nc_u32_e32 v89, 0, v27
	v_lshrrev_b32_e32 v27, 2, v23
	s_delay_alu instid0(VALU_DEP_4)
	v_lshlrev_b32_e32 v29, 2, v29
	s_clause 0x2
	global_load_b128 v[138:141], v29, s[4:5] offset:8
	global_load_b128 v[142:145], v29, s[4:5] offset:24
	;; [unrolled: 1-line block ×3, first 2 shown]
	v_sub_nc_u32_e32 v29, 0, v28
	v_sub_nc_u32_e32 v28, 0, v61
	v_lshrrev_b32_e32 v61, 2, v0
	global_wb scope:SCOPE_SE
	s_wait_loadcnt_dscnt 0x0
	s_barrier_signal -1
	s_barrier_wait -1
	global_inv scope:SCOPE_SE
	v_mul_u32_u24_e32 v55, 52, v61
	v_sub_nc_u32_e32 v61, 0, v60
	s_delay_alu instid0(VALU_DEP_2) | instskip(NEXT) | instid1(VALU_DEP_1)
	v_or_b32_e32 v55, v55, v22
	v_lshl_add_u32 v81, v55, 1, 0
	v_lshrrev_b32_e32 v57, 16, v138
	v_lshrrev_b32_e32 v59, 16, v139
	;; [unrolled: 1-line block ×9, first 2 shown]
	v_mul_f16_e64 v152, v137, v57
	v_lshrrev_b32_e32 v63, 16, v141
	v_lshrrev_b32_e32 v71, 16, v144
	;; [unrolled: 1-line block ×3, first 2 shown]
	v_mul_f16_e32 v113, v112, v57
	v_mul_f16_e64 v153, v136, v59
	v_mul_f16_e64 v154, v135, v62
	v_mul_f16_e32 v99, v104, v62
	v_mul_f16_e64 v157, v132, v67
	v_mul_f16_e32 v55, v110, v67
	v_mul_f16_e64 v159, v130, v75
	v_mul_f16_e32 v60, v95, v75
	v_mul_f16_e64 v161, v126, v77
	v_mul_f16_e32 v101, v105, v77
	v_mul_f16_e64 v162, v125, v150
	v_mul_f16_e64 v103, v92, v150
	;; [unrolled: 1-line block ×5, first 2 shown]
	v_mul_f16_e32 v73, v72, v62
	v_mul_f16_e64 v168, v121, v65
	v_mul_f16_e64 v169, v116, v67
	v_mul_f16_e32 v62, v64, v67
	v_mul_f16_e64 v171, v117, v75
	v_mul_f16_e32 v67, v70, v75
	;; [unrolled: 2-line block ×3, first 2 shown]
	v_mul_f16_e64 v174, v129, v150
	v_mul_f16_e64 v77, v108, v150
	;; [unrolled: 1-line block ×3, first 2 shown]
	v_fma_f16 v112, v112, v138, -v152
	v_mul_f16_e32 v106, v111, v59
	v_mul_f16_e64 v155, v134, v63
	v_mul_f16_e32 v94, v98, v63
	v_mul_f16_e64 v156, v133, v65
	;; [unrolled: 2-line block ×5, first 2 shown]
	v_mul_f16_e64 v164, v123, v57
	v_mul_f16_e32 v86, v78, v57
	v_mul_f16_e32 v80, v68, v59
	v_mul_f16_e64 v167, v115, v63
	v_mul_f16_e32 v69, v66, v63
	v_mul_f16_e32 v65, v97, v65
	v_mul_f16_e64 v170, v120, v71
	v_mul_f16_e32 v63, v91, v71
	v_mul_f16_e64 v172, v119, v76
	;; [unrolled: 2-line block ×3, first 2 shown]
	v_fma_f16 v111, v111, v139, -v153
	v_fma_f16 v57, v110, v143, -v157
	;; [unrolled: 1-line block ×6, first 2 shown]
	v_add_f16_e32 v107, v87, v112
	v_fmac_f16_e64 v113, v137, v138
	v_fma_f16 v104, v104, v140, -v154
	v_fmac_f16_e64 v102, v124, v149
	v_fmac_f16_e64 v106, v136, v139
	v_add_f16_e32 v107, v107, v111
	v_fmac_f16_e64 v99, v135, v140
	v_fma_f16 v98, v98, v141, -v155
	v_fmac_f16_e64 v94, v134, v141
	v_fmac_f16_e64 v58, v133, v142
	;; [unrolled: 1-line block ×9, first 2 shown]
	v_sub_f16_e32 v114, v113, v102
	v_add_f16_e32 v107, v107, v104
	v_fma_f16 v93, v93, v142, -v156
	v_fma_f16 v59, v109, v144, -v158
	;; [unrolled: 1-line block ×8, first 2 shown]
	v_fmac_f16_e64 v73, v122, v140
	v_fma_f16 v72, v66, v141, -v167
	v_fmac_f16_e64 v62, v116, v143
	v_fma_f16 v66, v91, v144, -v170
	v_fmac_f16_e64 v63, v120, v144
	v_fmac_f16_e64 v75, v118, v147
	v_fma_f16 v91, v108, v148, -v174
	v_add_f16_e32 v108, v112, v110
	v_sub_f16_e32 v116, v106, v103
	v_sub_f16_e32 v118, v99, v101
	;; [unrolled: 1-line block ×5, first 2 shown]
	v_mul_f16_e32 v125, 0xb770, v114
	v_mul_f16_e32 v126, 0xba95, v114
	v_add_f16_e32 v107, v107, v98
	v_fmac_f16_e64 v76, v127, v149
	v_mul_f16_e32 v127, 0xbbf1, v114
	v_mul_f16_e64 v128, 0xbb7b, v114
	v_fmac_f16_e64 v77, v129, v148
	v_mul_f16_e64 v129, 0xb94e, v114
	v_mul_f16_e32 v114, 0xb3a8, v114
	v_fmac_f16_e64 v86, v123, v138
	v_fmac_f16_e64 v69, v115, v141
	;; [unrolled: 1-line block ×3, first 2 shown]
	v_fma_f16 v64, v64, v143, -v169
	v_fma_f16 v70, v70, v145, -v171
	v_fmac_f16_e64 v67, v117, v145
	v_fma_f16 v74, v74, v146, -v172
	v_fmac_f16_e64 v71, v119, v146
	v_fma_f16 v79, v79, v147, -v173
	v_add_f16_e32 v115, v111, v109
	v_add_f16_e32 v117, v104, v105
	;; [unrolled: 1-line block ×5, first 2 shown]
	v_mul_f16_e64 v130, 0xba95, v116
	v_mul_f16_e64 v131, 0xbb7b, v116
	v_mul_f16_e64 v132, 0xb3a8, v116
	v_mul_f16_e64 v133, 0x394e, v116
	v_mul_f16_e64 v134, 0x3bf1, v116
	v_mul_f16_e32 v116, 0x3770, v116
	v_mul_f16_e64 v135, 0xbbf1, v118
	v_mul_f16_e64 v136, 0xb3a8, v118
	v_mul_f16_e64 v137, 0x3b7b, v118
	v_mul_f16_e64 v138, 0x3770, v118
	v_mul_f16_e64 v139, 0xba95, v118
	v_mul_f16_e32 v118, 0xb94e, v118
	;; [unrolled: 6-line block ×5, first 2 shown]
	v_fma_f16 v155, v108, 0x3b15, -v125
	v_fma_f16 v156, v108, 0x388b, -v126
	v_add_f16_e32 v107, v107, v93
	v_fmac_f16_e32 v125, 0x3b15, v108
	v_fmac_f16_e32 v126, 0x388b, v108
	v_fma_f16 v157, v108, 0x2fb7, -v127
	v_fma_f16 v158, v108, 0xb5ac, -v128
	v_fmac_f16_e32 v127, 0x2fb7, v108
	v_fmac_f16_e64 v128, 0xb5ac, v108
	v_fma_f16 v159, v108, 0xb9fd, -v129
	v_fma_f16 v160, v108, 0xbbc4, -v114
	v_fmac_f16_e64 v129, 0xb9fd, v108
	v_fmac_f16_e32 v114, 0xbbc4, v108
	v_fma_f16 v108, v115, 0x388b, -v130
	v_fmac_f16_e64 v130, 0x388b, v115
	v_fma_f16 v161, v115, 0xb5ac, -v131
	v_fmac_f16_e64 v131, 0xb5ac, v115
	v_fma_f16 v162, v115, 0xbbc4, -v132
	v_fmac_f16_e64 v132, 0xbbc4, v115
	v_fma_f16 v163, v115, 0xb9fd, -v133
	v_fmac_f16_e64 v133, 0xb9fd, v115
	v_fma_f16 v164, v115, 0x2fb7, -v134
	v_fmac_f16_e64 v134, 0x2fb7, v115
	v_fma_f16 v165, v115, 0x3b15, -v116
	v_fmac_f16_e32 v116, 0x3b15, v115
	v_fma_f16 v115, v117, 0x2fb7, -v135
	v_fmac_f16_e64 v135, 0x2fb7, v117
	v_fma_f16 v166, v117, 0xbbc4, -v136
	v_fmac_f16_e64 v136, 0xbbc4, v117
	v_fma_f16 v167, v117, 0xb5ac, -v137
	v_fmac_f16_e64 v137, 0xb5ac, v117
	v_fma_f16 v168, v117, 0x3b15, -v138
	v_fmac_f16_e64 v138, 0x3b15, v117
	v_fma_f16 v169, v117, 0x388b, -v139
	v_fmac_f16_e64 v139, 0x388b, v117
	v_fma_f16 v170, v117, 0xb9fd, -v118
	;; [unrolled: 12-line block ×5, first 2 shown]
	v_fmac_f16_e32 v124, 0x2fb7, v123
	v_add_f16_e64 v123, v87, v155
	v_add_f16_e64 v155, v87, v156
	v_add_f16_e32 v107, v107, v57
	v_add_f16_e32 v125, v87, v125
	;; [unrolled: 1-line block ×3, first 2 shown]
	v_add_f16_e64 v156, v87, v157
	v_add_f16_e64 v157, v87, v158
	v_add_f16_e32 v127, v87, v127
	v_add_f16_e64 v128, v87, v128
	v_add_f16_e64 v158, v87, v159
	;; [unrolled: 1-line block ×4, first 2 shown]
	v_add_f16_e32 v87, v87, v114
	v_add_f16_e32 v108, v108, v123
	v_add_f16_e64 v123, v161, v155
	v_add_f16_e32 v107, v107, v59
	v_add_f16_e64 v114, v130, v125
	v_add_f16_e64 v125, v131, v126
	;; [unrolled: 1-line block ×9, first 2 shown]
	v_add_f16_e32 v87, v116, v87
	v_add_f16_e32 v108, v115, v108
	v_add_f16_e64 v115, v166, v123
	v_add_f16_e32 v107, v107, v95
	v_add_f16_e64 v123, v167, v126
	v_add_f16_e64 v126, v168, v130
	;; [unrolled: 1-line block ×9, first 2 shown]
	v_add_f16_e32 v87, v118, v87
	v_add_f16_e64 v115, v171, v115
	v_add_f16_e32 v107, v107, v100
	v_add_f16_e32 v108, v117, v108
	v_add_f16_e64 v117, v172, v123
	v_add_f16_e64 v123, v173, v126
	;; [unrolled: 1-line block ×9, first 2 shown]
	v_add_f16_e32 v87, v120, v87
	v_add_f16_e64 v115, v176, v115
	v_add_f16_e32 v107, v107, v105
	v_add_f16_e64 v117, v177, v117
	;; [unrolled: 2-line block ×3, first 2 shown]
	v_add_f16_e64 v123, v179, v126
	v_add_f16_e64 v126, v180, v128
	;; [unrolled: 1-line block ×7, first 2 shown]
	v_add_f16_e32 v87, v122, v87
	v_add_f16_e64 v115, v181, v115
	v_add_f16_e32 v107, v107, v109
	v_add_f16_e64 v117, v182, v117
	v_add_f16_e64 v119, v183, v119
	v_add_f16_e32 v108, v121, v108
	v_add_f16_e64 v121, v184, v123
	v_add_f16_e64 v123, v185, v126
	;; [unrolled: 1-line block ×7, first 2 shown]
	v_add_f16_e32 v87, v124, v87
	v_add_f16_e32 v107, v107, v110
	ds_store_b16 v81, v115 offset:16
	ds_store_b16 v81, v117 offset:24
	;; [unrolled: 1-line block ×7, first 2 shown]
	ds_store_b16 v81, v107
	ds_store_b16 v81, v122 offset:64
	ds_store_b16 v81, v120 offset:72
	;; [unrolled: 1-line block ×5, first 2 shown]
	s_and_saveexec_b32 s1, s0
	s_cbranch_execz .LBB0_19
; %bb.18:
	v_sub_f16_e32 v108, v86, v76
	v_add_f16_e32 v107, v92, v97
	v_sub_f16_e32 v115, v80, v77
	v_add_f16_e32 v114, v90, v91
	v_sub_f16_e32 v117, v73, v75
	v_mul_f16_e32 v124, 0xb3a8, v108
	v_add_f16_e32 v116, v78, v79
	v_mul_f16_e32 v125, 0x3770, v115
	v_sub_f16_e32 v119, v69, v71
	v_mul_f16_e32 v126, 0xb94e, v117
	v_fma_f16 v133, 0xbbc4, v107, v124
	v_fma_f16 v124, v107, 0xbbc4, -v124
	v_fma_f16 v134, 0x3b15, v114, v125
	v_fma_f16 v125, v114, 0x3b15, -v125
	v_add_f16_e32 v118, v72, v74
	v_sub_f16_e32 v121, v65, v67
	v_add_f16_e32 v124, v53, v124
	v_mul_f16_e32 v127, 0x3a95, v119
	v_fma_f16 v135, 0xb9fd, v116, v126
	v_add_f16_e64 v133, v53, v133
	v_fma_f16 v126, v116, 0xb9fd, -v126
	v_add_f16_e32 v124, v125, v124
	v_add_f16_e32 v120, v68, v70
	v_mul_f16_e64 v128, 0xbb7b, v121
	v_mul_f16_e64 v130, 0xb94e, v108
	v_fma_f16 v136, 0x388b, v118, v127
	v_add_f16_e64 v133, v134, v133
	v_fma_f16 v127, v118, 0x388b, -v127
	v_add_f16_e32 v124, v126, v124
	v_sub_f16_e32 v123, v62, v63
	v_mul_f16_e64 v131, 0x3bf1, v115
	v_fma_f16 v137, 0xb5ac, v120, v128
	v_add_f16_e64 v125, v135, v133
	v_fma_f16 v133, 0xb9fd, v107, v130
	v_fma_f16 v128, v120, 0xb5ac, -v128
	v_add_f16_e32 v124, v127, v124
	v_add_f16_e32 v122, v64, v66
	v_mul_f16_e64 v129, 0x3bf1, v123
	v_mul_f16_e64 v132, 0xba95, v117
	v_fma_f16 v134, 0x2fb7, v114, v131
	v_add_f16_e64 v126, v53, v133
	v_add_f16_e64 v124, v128, v124
	v_fma_f16 v128, v107, 0xb9fd, -v130
	v_fma_f16 v138, 0x2fb7, v122, v129
	v_fma_f16 v127, 0x388b, v116, v132
	v_add_f16_e64 v126, v134, v126
	v_mul_f16_e64 v133, 0x33a8, v119
	v_fma_f16 v129, v122, 0x2fb7, -v129
	v_add_f16_e64 v128, v53, v128
	v_fma_f16 v131, v114, 0x2fb7, -v131
	v_add_f16_e32 v126, v127, v126
	v_fma_f16 v127, 0xbbc4, v118, v133
	v_mul_f16_e64 v130, 0x3770, v121
	v_add_f16_e64 v124, v129, v124
	v_add_f16_e64 v128, v131, v128
	v_fma_f16 v129, v116, 0x388b, -v132
	v_add_f16_e32 v126, v127, v126
	v_fma_f16 v127, 0x3b15, v120, v130
	v_mul_f16_e64 v134, 0xbb7b, v108
	v_mul_f16_e64 v131, 0x394e, v115
	v_add_f16_e64 v128, v129, v128
	v_fma_f16 v129, v118, 0xbbc4, -v133
	v_add_f16_e32 v126, v127, v126
	v_fma_f16 v127, 0xb5ac, v107, v134
	v_fma_f16 v133, 0xb9fd, v114, v131
	v_mul_f16_e64 v135, 0x3770, v117
	v_add_f16_e64 v128, v129, v128
	v_fma_f16 v129, v120, 0x3b15, -v130
	v_add_f16_e32 v127, v53, v127
	v_mul_f16_e64 v132, 0xbb7b, v123
	v_fma_f16 v130, 0x3b15, v116, v135
	v_fma_f16 v131, v114, 0xb9fd, -v131
	v_add_f16_e64 v128, v129, v128
	v_fma_f16 v129, v107, 0xb5ac, -v134
	v_add_f16_e64 v127, v133, v127
	v_mul_f16_e64 v133, 0xbbf1, v119
	v_add_f16_e64 v125, v136, v125
	v_fma_f16 v136, 0xb5ac, v122, v132
	v_add_f16_e64 v129, v53, v129
	v_add_f16_e64 v127, v130, v127
	v_fma_f16 v130, 0x2fb7, v118, v133
	v_mul_f16_e64 v134, 0x33a8, v121
	v_add_f16_e64 v126, v136, v126
	v_add_f16_e64 v129, v131, v129
	v_fma_f16 v131, v116, 0x3b15, -v135
	v_fma_f16 v132, v122, 0xb5ac, -v132
	v_add_f16_e64 v127, v130, v127
	v_fma_f16 v130, 0xbbc4, v120, v134
	v_mul_f16_e64 v136, 0xbbf1, v108
	v_add_f16_e64 v129, v131, v129
	v_fma_f16 v131, v118, 0x2fb7, -v133
	v_add_f16_e64 v128, v132, v128
	v_add_f16_e64 v127, v130, v127
	v_fma_f16 v130, 0x2fb7, v107, v136
	v_mul_f16_e64 v132, 0xb3a8, v115
	v_add_f16_e64 v129, v131, v129
	v_fma_f16 v131, v120, 0xbbc4, -v134
	v_add_f16_e64 v125, v137, v125
	v_add_f16_e64 v130, v53, v130
	v_fma_f16 v133, 0xbbc4, v114, v132
	v_mul_f16_e64 v137, 0x3b7b, v117
	v_add_f16_e64 v129, v131, v129
	v_fma_f16 v131, v107, 0x2fb7, -v136
	v_mul_f16_e64 v134, 0x3770, v119
	v_add_f16_e64 v130, v133, v130
	v_fma_f16 v133, 0xb5ac, v116, v137
	v_fma_f16 v132, v114, 0xbbc4, -v132
	v_add_f16_e64 v131, v53, v131
	v_add_f16_e32 v87, v53, v92
	v_mul_f16_e64 v135, 0x3a95, v123
	v_add_f16_e64 v130, v133, v130
	v_fma_f16 v133, 0x3b15, v118, v134
	v_mul_f16_e64 v136, 0xba95, v121
	v_add_f16_e64 v131, v132, v131
	v_fma_f16 v132, v116, 0xb5ac, -v137
	v_add_f16_e32 v87, v87, v90
	v_add_f16_e64 v125, v138, v125
	v_fma_f16 v138, 0x388b, v122, v135
	v_fma_f16 v135, v122, 0x388b, -v135
	v_add_f16_e64 v130, v133, v130
	v_fma_f16 v133, 0x388b, v120, v136
	v_add_f16_e64 v131, v132, v131
	v_fma_f16 v132, v118, 0x3b15, -v134
	v_add_f16_e32 v87, v87, v78
	v_add_f16_e64 v129, v135, v129
	v_mul_f16_e64 v135, 0xba95, v108
	v_add_f16_e64 v130, v133, v130
	v_mul_f16_e64 v133, 0xb94e, v123
	v_add_f16_e64 v131, v132, v131
	v_fma_f16 v132, v120, 0x388b, -v136
	v_add_f16_e32 v87, v87, v72
	v_add_f16_e64 v127, v138, v127
	v_fma_f16 v137, 0x388b, v107, v135
	v_mul_f16_e64 v138, 0xbb7b, v115
	v_fma_f16 v134, 0xb9fd, v122, v133
	v_add_f16_e64 v131, v132, v131
	v_fma_f16 v132, v122, 0xb9fd, -v133
	v_fma_f16 v133, v107, 0x388b, -v135
	v_add_f16_e32 v87, v87, v68
	v_add_f16_e64 v137, v53, v137
	v_fma_f16 v139, 0xb5ac, v114, v138
	v_mul_f16_e64 v140, 0xb3a8, v117
	v_add_f16_e64 v131, v132, v131
	v_add_f16_e64 v132, v53, v133
	v_fma_f16 v133, v114, 0xb5ac, -v138
	v_mul_f16_e32 v108, 0xb770, v108
	v_add_f16_e32 v87, v87, v64
	v_add_f16_e64 v130, v134, v130
	v_add_f16_e64 v134, v139, v137
	v_mul_f16_e64 v137, 0x394e, v119
	v_add_f16_e64 v132, v133, v132
	v_fma_f16 v133, v116, 0xbbc4, -v140
	v_fma_f16 v139, v107, 0x3b15, -v108
	v_mul_f16_e32 v115, 0xba95, v115
	v_fmamk_f16 v107, v107, 0x3b15, v108
	v_add_f16_e32 v87, v87, v66
	v_fma_f16 v135, 0xb9fd, v118, v137
	v_add_f16_e64 v132, v133, v132
	v_fma_f16 v108, v118, 0xb9fd, -v137
	v_add_f16_e64 v133, v53, v139
	v_fma_f16 v137, v114, 0x388b, -v115
	v_mul_f16_e32 v117, 0xbbf1, v117
	v_fma_f16 v136, 0xbbc4, v116, v140
	v_add_f16_e32 v53, v53, v107
	v_fmamk_f16 v107, v114, 0x388b, v115
	v_add_f16_e32 v87, v87, v70
	v_add_f16_e64 v114, v137, v133
	v_fma_f16 v115, v116, 0x2fb7, -v117
	v_mul_f16_e32 v119, 0xbb7b, v119
	v_add_f16_e64 v134, v136, v134
	v_mul_f16_e64 v136, 0x3bf1, v121
	v_add_f16_e32 v53, v107, v53
	v_fmamk_f16 v107, v116, 0x2fb7, v117
	v_add_f16_e32 v87, v87, v74
	v_add_f16_e32 v114, v115, v114
	v_fma_f16 v115, v118, 0xb5ac, -v119
	v_mul_f16_e32 v117, 0xb94e, v121
	v_add_f16_e64 v108, v108, v132
	v_fma_f16 v116, v120, 0x2fb7, -v136
	v_add_f16_e32 v53, v107, v53
	v_fmamk_f16 v107, v118, 0xb5ac, v119
	v_mul_lo_u32 v118, v27, 52
	v_add_f16_e32 v87, v87, v79
	v_add_f16_e32 v114, v115, v114
	v_fma_f16 v115, v120, 0xb9fd, -v117
	v_add_f16_e32 v108, v116, v108
	v_mul_f16_e32 v116, 0xb3a8, v123
	v_mul_f16_e64 v138, 0x3770, v123
	v_add_f16_e32 v87, v87, v91
	v_add_f16_e64 v134, v135, v134
	v_fma_f16 v135, 0x2fb7, v120, v136
	v_add_f16_e32 v53, v107, v53
	v_fmamk_f16 v107, v120, 0xb9fd, v117
	v_add_f16_e32 v114, v115, v114
	v_or_b32_e32 v115, v118, v22
	v_fma_f16 v117, v122, 0xbbc4, -v116
	v_fma_f16 v118, v122, 0x3b15, -v138
	v_add_f16_e32 v87, v87, v97
	v_add_f16_e64 v134, v135, v134
	v_fma_f16 v135, 0x3b15, v122, v138
	v_add_f16_e32 v53, v107, v53
	v_fmamk_f16 v107, v122, 0xbbc4, v116
	v_lshl_add_u32 v115, v115, 1, 0
	v_add_f16_e32 v114, v117, v114
	v_add_f16_e32 v108, v118, v108
	v_add_f16_e64 v116, v135, v134
	v_add_f16_e32 v53, v107, v53
	ds_store_b16 v115, v87
	ds_store_b16 v115, v114 offset:8
	ds_store_b16 v115, v108 offset:16
	ds_store_b16 v115, v131 offset:24
	ds_store_b16 v115, v129 offset:32
	ds_store_b16 v115, v128 offset:40
	ds_store_b16 v115, v124 offset:48
	ds_store_b16 v115, v125 offset:56
	ds_store_b16 v115, v126 offset:64
	ds_store_b16 v115, v127 offset:72
	ds_store_b16 v115, v130 offset:80
	ds_store_b16 v115, v116 offset:88
	ds_store_b16 v115, v53 offset:96
.LBB0_19:
	s_wait_alu 0xfffe
	s_or_b32 exec_lo, exec_lo, s1
	v_add_f16_e32 v53, v54, v113
	v_sub_f16_e32 v87, v112, v110
	v_add_f16_e32 v107, v113, v102
	v_add_f16_e32 v108, v106, v103
	v_sub_f16_e32 v109, v111, v109
	v_add_f16_e32 v53, v53, v106
	v_mul_f16_e32 v106, 0xb770, v87
	v_mul_f16_e32 v110, 0xba95, v87
	;; [unrolled: 1-line block ×4, first 2 shown]
	v_add_f16_e32 v53, v53, v99
	v_mul_f16_e32 v113, 0xb94e, v87
	v_mul_f16_e32 v87, 0xb3a8, v87
	;; [unrolled: 1-line block ×4, first 2 shown]
	v_add_f16_e32 v53, v53, v94
	v_fmamk_f16 v118, v107, 0x3b15, v106
	v_fma_f16 v106, v107, 0x3b15, -v106
	v_fmamk_f16 v119, v107, 0x388b, v110
	v_fma_f16 v110, v107, 0x388b, -v110
	v_add_f16_e32 v53, v53, v58
	v_mul_f16_e32 v116, 0xb3a8, v109
	v_mul_f16_e32 v117, 0x394e, v109
	v_fmamk_f16 v120, v107, 0x2fb7, v111
	v_fma_f16 v111, v107, 0x2fb7, -v111
	v_add_f16_e32 v53, v53, v55
	v_fmamk_f16 v121, v107, 0xb5ac, v112
	v_fma_f16 v112, v107, 0xb5ac, -v112
	v_fmamk_f16 v122, v107, 0xb9fd, v113
	v_fma_f16 v113, v107, 0xb9fd, -v113
	v_add_f16_e32 v53, v53, v56
	v_fmamk_f16 v123, v107, 0xbbc4, v87
	v_fma_f16 v87, v107, 0xbbc4, -v87
	;; [unrolled: 5-line block ×3, first 2 shown]
	v_add_f16_e32 v118, v54, v118
	v_add_f16_e32 v106, v54, v106
	;; [unrolled: 1-line block ×18, first 2 shown]
	v_fmamk_f16 v102, v108, 0xbbc4, v116
	v_add_f16_e32 v110, v115, v110
	v_fma_f16 v114, v108, 0xbbc4, -v116
	v_fmamk_f16 v115, v108, 0xb9fd, v117
	v_fma_f16 v116, v108, 0xb9fd, -v117
	v_mul_f16_e32 v117, 0x3bf1, v109
	v_sub_f16_e32 v104, v104, v105
	v_add_f16_e32 v111, v114, v111
	v_add_f16_e32 v114, v115, v121
	v_mul_f16_e32 v109, 0x3770, v109
	v_fma_f16 v115, v108, 0x2fb7, -v117
	v_add_f16_e32 v99, v99, v101
	v_mul_f16_e32 v101, 0xbbf1, v104
	v_add_f16_e32 v112, v116, v112
	v_fmamk_f16 v105, v108, 0x2fb7, v117
	v_fmamk_f16 v116, v108, 0x3b15, v109
	v_fma_f16 v108, v108, 0x3b15, -v109
	v_add_f16_e32 v109, v115, v113
	v_fmamk_f16 v113, v99, 0x2fb7, v101
	v_mul_f16_e32 v115, 0xb3a8, v104
	v_add_f16_e32 v53, v124, v119
	v_add_f16_e32 v54, v108, v54
	;; [unrolled: 1-line block ×4, first 2 shown]
	v_fmamk_f16 v108, v99, 0xbbc4, v115
	v_mul_f16_e32 v113, 0x3b7b, v104
	v_fma_f16 v101, v99, 0x2fb7, -v101
	v_add_f16_e32 v105, v105, v122
	v_fma_f16 v115, v99, 0xbbc4, -v115
	v_add_f16_e32 v53, v108, v53
	v_fmamk_f16 v108, v99, 0xb5ac, v113
	v_add_f16_e32 v101, v101, v106
	v_mul_f16_e32 v106, 0x3770, v104
	v_sub_f16_e32 v98, v98, v100
	v_add_f16_e32 v103, v116, v103
	v_add_f16_e32 v102, v108, v102
	v_mul_f16_e32 v108, 0xba95, v104
	v_mul_f16_e32 v104, 0xb94e, v104
	v_add_f16_e32 v110, v115, v110
	v_fma_f16 v113, v99, 0xb5ac, -v113
	v_fmamk_f16 v115, v99, 0x3b15, v106
	v_fmamk_f16 v100, v99, 0x388b, v108
	v_fma_f16 v108, v99, 0x388b, -v108
	v_fma_f16 v106, v99, 0x3b15, -v106
	v_add_f16_e32 v94, v94, v96
	v_mul_f16_e32 v96, 0xbb7b, v98
	v_add_f16_e32 v100, v100, v105
	v_fmamk_f16 v105, v99, 0xb9fd, v104
	v_fma_f16 v99, v99, 0xb9fd, -v104
	v_add_f16_e32 v104, v108, v109
	v_mul_f16_e32 v109, 0x394e, v98
	v_fmamk_f16 v108, v94, 0xb5ac, v96
	v_add_f16_e32 v103, v105, v103
	v_add_f16_e32 v54, v99, v54
	v_mul_f16_e32 v105, 0x3770, v98
	v_fmamk_f16 v99, v94, 0xb9fd, v109
	v_fma_f16 v96, v94, 0xb5ac, -v96
	v_sub_f16_e32 v93, v93, v95
	v_add_f16_e32 v58, v58, v60
	v_add_f16_e32 v87, v108, v87
	;; [unrolled: 1-line block ×3, first 2 shown]
	v_fmamk_f16 v99, v94, 0x3b15, v105
	v_add_f16_e32 v96, v96, v101
	v_mul_f16_e32 v101, 0xbbf1, v98
	v_mul_f16_e32 v60, 0xb94e, v93
	v_fma_f16 v108, v94, 0xb9fd, -v109
	v_add_f16_e32 v99, v99, v102
	v_mul_f16_e32 v102, 0x33a8, v98
	v_mul_f16_e32 v98, 0x3a95, v98
	v_fma_f16 v105, v94, 0x3b15, -v105
	v_fmamk_f16 v109, v94, 0x2fb7, v101
	v_fma_f16 v101, v94, 0x2fb7, -v101
	v_fmamk_f16 v95, v94, 0xbbc4, v102
	v_fma_f16 v102, v94, 0xbbc4, -v102
	v_add_f16_e32 v106, v106, v112
	v_add_f16_e32 v111, v113, v111
	;; [unrolled: 1-line block ×4, first 2 shown]
	v_fmamk_f16 v100, v94, 0x388b, v98
	v_fma_f16 v94, v94, 0x388b, -v98
	v_add_f16_e32 v98, v102, v104
	v_fmamk_f16 v102, v58, 0xb9fd, v60
	v_mul_f16_e32 v104, 0x3bf1, v93
	v_fma_f16 v60, v58, 0xb9fd, -v60
	v_add_f16_e32 v54, v94, v54
	v_add_f16_e32 v101, v101, v106
	;; [unrolled: 1-line block ×3, first 2 shown]
	v_fmamk_f16 v94, v58, 0x2fb7, v104
	v_mul_f16_e32 v102, 0xba95, v93
	v_add_f16_e32 v60, v60, v96
	v_mul_f16_e32 v96, 0x33a8, v93
	v_mul_f16_e32 v106, 0x3770, v93
	v_sub_f16_e32 v57, v57, v59
	v_add_f16_e32 v105, v105, v111
	v_add_f16_e32 v109, v109, v113
	;; [unrolled: 1-line block ×3, first 2 shown]
	v_fma_f16 v103, v58, 0x2fb7, -v104
	v_add_f16_e32 v53, v94, v53
	v_fmamk_f16 v94, v58, 0x388b, v102
	v_fma_f16 v102, v58, 0x388b, -v102
	v_fmamk_f16 v104, v58, 0xbbc4, v96
	v_fma_f16 v96, v58, 0xbbc4, -v96
	v_mul_f16_e32 v93, 0xbb7b, v93
	v_fma_f16 v59, v58, 0x3b15, -v106
	v_add_f16_e32 v55, v55, v56
	v_mul_f16_e32 v56, 0xb3a8, v57
	v_add_f16_e32 v94, v94, v99
	v_add_f16_e32 v99, v102, v105
	v_add_f16_e32 v102, v104, v109
	v_fmamk_f16 v104, v58, 0x3b15, v106
	v_add_f16_e32 v96, v96, v101
	v_fmamk_f16 v101, v58, 0xb5ac, v93
	v_fma_f16 v58, v58, 0xb5ac, -v93
	v_mul_f16_e32 v93, 0x3770, v57
	v_add_f16_e32 v108, v108, v110
	v_add_f16_e32 v59, v59, v98
	v_fmamk_f16 v98, v55, 0xbbc4, v56
	v_fma_f16 v56, v55, 0xbbc4, -v56
	v_add_f16_e32 v105, v58, v54
	v_fmamk_f16 v54, v55, 0x3b15, v93
	v_mul_f16_e32 v58, 0xb94e, v57
	v_add_f16_e32 v103, v103, v108
	v_add_f16_e32 v108, v56, v60
	v_fma_f16 v56, v55, 0x3b15, -v93
	v_add_f16_e32 v109, v54, v53
	v_fmamk_f16 v53, v55, 0xb9fd, v58
	v_fma_f16 v54, v55, 0xb9fd, -v58
	v_mul_f16_e32 v58, 0x3a95, v57
	v_add_f16_e32 v103, v56, v103
	v_mul_f16_e32 v56, 0xbb7b, v57
	v_add_f16_e32 v110, v53, v94
	v_add_f16_e32 v111, v54, v99
	v_fma_f16 v54, v55, 0x388b, -v58
	v_fmamk_f16 v53, v55, 0x388b, v58
	v_mul_f16_e32 v57, 0x3bf1, v57
	v_fmamk_f16 v58, v55, 0xb5ac, v56
	v_fma_f16 v56, v55, 0xb5ac, -v56
	v_add_f16_e32 v95, v104, v95
	v_add_f16_e32 v113, v54, v96
	v_add_nc_u32_e32 v54, v1, v28
	v_add_f16_e32 v112, v53, v102
	v_fmamk_f16 v116, v55, 0x2fb7, v57
	v_fma_f16 v117, v55, 0x2fb7, -v57
	v_add_nc_u32_e32 v53, v11, v29
	v_add_nc_u32_e32 v55, v7, v89
	v_add_f16_e32 v115, v56, v59
	v_add_nc_u32_e32 v56, v16, v88
	v_add_nc_u32_e32 v57, v5, v85
	v_add_f16_e32 v114, v58, v95
	v_add_nc_u32_e32 v58, v9, v84
	v_add_f16_e32 v104, v101, v100
	v_add_f16_e32 v106, v98, v87
	global_wb scope:SCOPE_SE
	s_wait_dscnt 0x0
	s_barrier_signal -1
	s_barrier_wait -1
	global_inv scope:SCOPE_SE
	ds_load_u16 v87, v51
	ds_load_u16 v11, v53
	;; [unrolled: 1-line block ×3, first 2 shown]
	ds_load_u16 v101, v50 offset:1248
	ds_load_u16 v100, v50 offset:1352
	;; [unrolled: 1-line block ×7, first 2 shown]
	v_add_nc_u32_e32 v59, v18, v83
	v_add_nc_u32_e32 v60, v20, v82
	ds_load_u16 v96, v50 offset:1976
	ds_load_u16 v85, v50 offset:2080
	;; [unrolled: 1-line block ×4, first 2 shown]
	v_add_nc_u32_e32 v61, v13, v61
	ds_load_u16 v82, v54
	ds_load_u16 v20, v55
	;; [unrolled: 1-line block ×9, first 2 shown]
	ds_load_u16 v98, v50 offset:2392
	v_add_f16_e32 v1, v116, v104
	v_add_f16_e32 v28, v117, v105
	global_wb scope:SCOPE_SE
	s_wait_dscnt 0x0
	s_barrier_signal -1
	s_barrier_wait -1
	global_inv scope:SCOPE_SE
	ds_store_b16 v81, v107
	ds_store_b16 v81, v106 offset:8
	ds_store_b16 v81, v109 offset:16
	ds_store_b16 v81, v110 offset:24
	ds_store_b16 v81, v112 offset:32
	ds_store_b16 v81, v114 offset:40
	ds_store_b16 v81, v1 offset:48
	ds_store_b16 v81, v28 offset:56
	ds_store_b16 v81, v115 offset:64
	ds_store_b16 v81, v113 offset:72
	ds_store_b16 v81, v111 offset:80
	ds_store_b16 v81, v103 offset:88
	ds_store_b16 v81, v108 offset:96
	s_and_saveexec_b32 s1, s0
	s_cbranch_execz .LBB0_21
; %bb.20:
	v_add_f16_e32 v1, v25, v86
	v_sub_f16_e32 v28, v92, v97
	v_add_f16_e32 v29, v86, v76
	v_add_f16_e32 v81, v80, v77
	v_sub_f16_e32 v86, v90, v91
	v_add_f16_e32 v1, v1, v80
	v_mul_f16_e32 v80, 0xb770, v28
	v_mul_f16_e32 v90, 0xba95, v28
	;; [unrolled: 1-line block ×4, first 2 shown]
	v_add_f16_e32 v1, v1, v73
	v_mul_f16_e32 v97, 0xb94e, v28
	v_mul_f16_e32 v28, 0xb3a8, v28
	;; [unrolled: 1-line block ×4, first 2 shown]
	v_add_f16_e32 v1, v1, v69
	v_fmamk_f16 v107, v29, 0x3b15, v80
	v_fma_f16 v80, v29, 0x3b15, -v80
	v_fmamk_f16 v108, v29, 0x388b, v90
	v_fma_f16 v90, v29, 0x388b, -v90
	v_add_f16_e32 v1, v1, v65
	v_mul_f16_e32 v105, 0xb3a8, v86
	v_mul_f16_e32 v106, 0x394e, v86
	v_fmamk_f16 v109, v29, 0x2fb7, v91
	v_fma_f16 v91, v29, 0x2fb7, -v91
	v_add_f16_e32 v1, v1, v62
	v_fmamk_f16 v110, v29, 0xb5ac, v92
	v_fma_f16 v92, v29, 0xb5ac, -v92
	v_fmamk_f16 v111, v29, 0xb9fd, v97
	v_fma_f16 v97, v29, 0xb9fd, -v97
	v_add_f16_e32 v1, v1, v63
	v_fmamk_f16 v112, v29, 0xbbc4, v28
	v_fma_f16 v28, v29, 0xbbc4, -v28
	;; [unrolled: 5-line block ×3, first 2 shown]
	v_add_f16_e32 v107, v25, v107
	v_add_f16_e32 v80, v25, v80
	;; [unrolled: 1-line block ×17, first 2 shown]
	v_fmamk_f16 v80, v81, 0xbbc4, v105
	v_add_f16_e32 v90, v104, v90
	v_fma_f16 v103, v81, 0xbbc4, -v105
	v_fmamk_f16 v104, v81, 0xb9fd, v106
	v_fma_f16 v105, v81, 0xb9fd, -v106
	v_mul_f16_e32 v106, 0x3bf1, v86
	v_sub_f16_e32 v78, v78, v79
	v_add_f16_e32 v91, v103, v91
	v_add_f16_e32 v103, v104, v110
	v_mul_f16_e32 v86, 0x3770, v86
	v_fma_f16 v104, v81, 0x2fb7, -v106
	v_add_f16_e32 v73, v73, v75
	v_mul_f16_e32 v75, 0xbbf1, v78
	v_add_f16_e32 v92, v105, v92
	v_fmamk_f16 v79, v81, 0x2fb7, v106
	v_fmamk_f16 v105, v81, 0x3b15, v86
	v_fma_f16 v81, v81, 0x3b15, -v86
	v_add_f16_e32 v86, v104, v97
	v_fmamk_f16 v97, v73, 0x2fb7, v75
	v_mul_f16_e32 v104, 0xb3a8, v78
	v_add_f16_e32 v1, v1, v76
	v_add_f16_e32 v76, v113, v108
	v_add_f16_e32 v25, v81, v25
	v_add_f16_e32 v28, v97, v28
	v_fmamk_f16 v81, v73, 0xbbc4, v104
	v_mul_f16_e32 v97, 0x3b7b, v78
	v_add_f16_e32 v80, v80, v109
	v_fma_f16 v75, v73, 0x2fb7, -v75
	v_add_f16_e32 v79, v79, v111
	v_add_f16_e32 v76, v81, v76
	v_fmamk_f16 v81, v73, 0xb5ac, v97
	v_fma_f16 v104, v73, 0xbbc4, -v104
	v_add_f16_e32 v29, v75, v29
	v_mul_f16_e32 v75, 0x3770, v78
	v_sub_f16_e32 v72, v72, v74
	v_add_f16_e32 v80, v81, v80
	v_mul_f16_e32 v81, 0xba95, v78
	v_mul_f16_e32 v78, 0xb94e, v78
	v_add_f16_e32 v77, v105, v77
	v_add_f16_e32 v90, v104, v90
	v_fma_f16 v97, v73, 0xb5ac, -v97
	v_fmamk_f16 v74, v73, 0x388b, v81
	v_fma_f16 v81, v73, 0x388b, -v81
	v_fmamk_f16 v104, v73, 0x3b15, v75
	v_fma_f16 v75, v73, 0x3b15, -v75
	v_add_f16_e32 v69, v69, v71
	v_mul_f16_e32 v71, 0xbb7b, v72
	v_add_f16_e32 v74, v74, v79
	v_fmamk_f16 v79, v73, 0xb9fd, v78
	v_fma_f16 v73, v73, 0xb9fd, -v78
	v_add_f16_e32 v78, v81, v86
	v_mul_f16_e32 v86, 0x394e, v72
	v_fmamk_f16 v81, v69, 0xb5ac, v71
	v_add_f16_e32 v77, v79, v77
	v_add_f16_e32 v25, v73, v25
	v_fma_f16 v71, v69, 0xb5ac, -v71
	v_fmamk_f16 v73, v69, 0xb9fd, v86
	v_mul_f16_e32 v79, 0x3770, v72
	v_add_f16_e32 v75, v75, v92
	v_add_f16_e32 v28, v81, v28
	v_add_f16_e32 v29, v71, v29
	v_mul_f16_e32 v71, 0xbbf1, v72
	v_add_f16_e32 v73, v73, v76
	v_fmamk_f16 v76, v69, 0x3b15, v79
	v_fma_f16 v81, v69, 0xb9fd, -v86
	v_sub_f16_e32 v68, v68, v70
	v_fmamk_f16 v86, v69, 0x2fb7, v71
	v_fma_f16 v71, v69, 0x2fb7, -v71
	v_add_f16_e32 v76, v76, v80
	v_mul_f16_e32 v80, 0x33a8, v72
	v_mul_f16_e32 v72, 0x3a95, v72
	v_add_f16_e32 v65, v65, v67
	v_add_f16_e32 v71, v71, v75
	v_mul_f16_e32 v67, 0xb94e, v68
	v_fmamk_f16 v70, v69, 0xbbc4, v80
	v_fma_f16 v75, v69, 0xbbc4, -v80
	v_fma_f16 v79, v69, 0x3b15, -v79
	v_sub_f16_e32 v64, v64, v66
	v_add_f16_e32 v62, v62, v63
	v_add_f16_e32 v70, v70, v74
	v_fmamk_f16 v74, v69, 0x388b, v72
	v_fma_f16 v69, v69, 0x388b, -v72
	v_add_f16_e32 v72, v75, v78
	v_fmamk_f16 v75, v65, 0xb9fd, v67
	v_mul_f16_e32 v78, 0x3bf1, v68
	v_fma_f16 v67, v65, 0xb9fd, -v67
	v_add_f16_e32 v25, v69, v25
	v_add_f16_e32 v74, v74, v77
	;; [unrolled: 1-line block ×3, first 2 shown]
	v_fmamk_f16 v69, v65, 0x2fb7, v78
	v_mul_f16_e32 v75, 0xba95, v68
	v_add_f16_e32 v29, v67, v29
	v_mul_f16_e32 v67, 0x33a8, v68
	v_fma_f16 v77, v65, 0x2fb7, -v78
	v_add_f16_e32 v69, v69, v73
	v_fmamk_f16 v73, v65, 0x388b, v75
	v_mul_f16_e32 v63, 0xb3a8, v64
	v_fmamk_f16 v78, v65, 0xbbc4, v67
	v_fma_f16 v67, v65, 0xbbc4, -v67
	v_fma_f16 v75, v65, 0x388b, -v75
	v_add_f16_e32 v73, v73, v76
	v_mul_f16_e32 v76, 0x3770, v68
	v_mul_f16_e32 v68, 0xbb7b, v68
	v_add_f16_e32 v67, v67, v71
	v_mul_lo_u32 v27, v27, 52
	v_add_f16_e32 v91, v97, v91
	v_fmamk_f16 v66, v65, 0x3b15, v76
	v_fma_f16 v71, v65, 0x3b15, -v76
	v_add_f16_e32 v97, v104, v103
	v_add_f16_e32 v81, v81, v90
	;; [unrolled: 1-line block ×4, first 2 shown]
	v_fmamk_f16 v70, v65, 0xb5ac, v68
	v_fma_f16 v65, v65, 0xb5ac, -v68
	v_add_f16_e32 v68, v71, v72
	v_fmamk_f16 v71, v62, 0xbbc4, v63
	v_mul_f16_e32 v72, 0x3770, v64
	v_fma_f16 v63, v62, 0xbbc4, -v63
	v_add_f16_e32 v25, v65, v25
	v_add_f16_e32 v86, v86, v97
	;; [unrolled: 1-line block ×3, first 2 shown]
	v_fmamk_f16 v65, v62, 0x3b15, v72
	v_mul_f16_e32 v71, 0xb94e, v64
	v_add_f16_e32 v29, v63, v29
	v_mul_f16_e32 v63, 0x3a95, v64
	v_add_f16_e32 v70, v70, v74
	v_add_f16_e32 v65, v65, v69
	v_fmamk_f16 v69, v62, 0xb9fd, v71
	v_or_b32_e32 v22, v27, v22
	v_fmamk_f16 v74, v62, 0x388b, v63
	v_fma_f16 v63, v62, 0x388b, -v63
	v_add_f16_e32 v78, v78, v86
	v_add_f16_e32 v69, v69, v73
	v_mul_f16_e32 v73, 0xbb7b, v64
	v_mul_f16_e32 v64, 0x3bf1, v64
	v_add_f16_e32 v77, v77, v81
	v_add_f16_e32 v75, v75, v79
	v_fma_f16 v72, v62, 0x3b15, -v72
	v_fma_f16 v71, v62, 0xb9fd, -v71
	v_add_f16_e32 v63, v63, v67
	v_fmamk_f16 v27, v62, 0xb5ac, v73
	v_fma_f16 v67, v62, 0xb5ac, -v73
	v_fmamk_f16 v73, v62, 0x2fb7, v64
	v_fma_f16 v62, v62, 0x2fb7, -v64
	v_lshl_add_u32 v22, v22, 1, 0
	v_add_f16_e32 v74, v74, v78
	v_add_f16_e32 v72, v72, v77
	v_add_f16_e32 v71, v71, v75
	v_add_f16_e32 v27, v27, v66
	v_add_f16_e32 v64, v67, v68
	v_add_f16_e32 v66, v73, v70
	v_add_f16_e32 v25, v62, v25
	ds_store_b16 v22, v1
	ds_store_b16 v22, v28 offset:8
	ds_store_b16 v22, v65 offset:16
	;; [unrolled: 1-line block ×12, first 2 shown]
.LBB0_21:
	s_wait_alu 0xfffe
	s_or_b32 exec_lo, exec_lo, s1
	v_dual_mov_b32 v1, 0 :: v_dual_and_b32 v22, 0xff, v21
	v_and_b32_e32 v25, 0xff, v19
	v_and_b32_e32 v27, 0xffff, v17
	;; [unrolled: 1-line block ×8, first 2 shown]
	v_mul_lo_u16 v22, 0x4f, v22
	v_and_b32_e32 v68, 0xffff, v6
	v_lshlrev_b64_e32 v[28:29], 2, v[0:1]
	v_mul_lo_u16 v25, 0x4f, v25
	v_mul_u32_u24_e32 v64, 0x4ec5, v27
	v_mul_u32_u24_e32 v62, 0x4ec5, v62
	;; [unrolled: 1-line block ×7, first 2 shown]
	v_lshrrev_b16 v22, 12, v22
	v_mul_u32_u24_e32 v68, 0x4ec5, v68
	v_lshrrev_b16 v25, 12, v25
	v_add_co_u32 v28, s0, s4, v28
	v_lshrrev_b32_e32 v27, 20, v64
	v_lshrrev_b32_e32 v65, 20, v62
	s_wait_alu 0xf1ff
	v_add_co_ci_u32_e64 v29, s0, s5, v29, s0
	v_lshrrev_b32_e32 v66, 20, v63
	v_lshrrev_b32_e32 v69, 20, v69
	;; [unrolled: 1-line block ×5, first 2 shown]
	v_mul_lo_u16 v22, v22, 52
	v_lshrrev_b32_e32 v78, 20, v68
	v_mul_lo_u16 v25, v25, 52
	v_mul_lo_u16 v27, v27, 52
	;; [unrolled: 1-line block ×3, first 2 shown]
	global_wb scope:SCOPE_SE
	s_wait_dscnt 0x0
	s_barrier_signal -1
	s_barrier_wait -1
	global_inv scope:SCOPE_SE
	global_load_b32 v70, v[28:29], off offset:200
	v_mul_lo_u16 v66, v66, 52
	v_mul_lo_u16 v69, v69, 52
	;; [unrolled: 1-line block ×5, first 2 shown]
	v_sub_nc_u16 v22, v21, v22
	v_mul_lo_u16 v78, v78, 52
	v_sub_nc_u16 v25, v19, v25
	v_sub_nc_u16 v27, v17, v27
	;; [unrolled: 1-line block ×8, first 2 shown]
	v_and_b32_e32 v22, 0xff, v22
	v_sub_nc_u16 v78, v6, v78
	v_and_b32_e32 v71, 0xff, v25
	v_and_b32_e32 v72, 0xffff, v27
	;; [unrolled: 1-line block ×8, first 2 shown]
	v_lshlrev_b32_e32 v25, 2, v22
	v_and_b32_e32 v78, 0xffff, v78
	v_lshlrev_b32_e32 v27, 2, v71
	v_lshlrev_b32_e32 v65, 2, v72
	;; [unrolled: 1-line block ×9, first 2 shown]
	s_clause 0x9
	global_load_b32 v91, v25, s[4:5] offset:200
	global_load_b32 v92, v27, s[4:5] offset:200
	;; [unrolled: 1-line block ×10, first 2 shown]
	v_mov_b32_e32 v27, v1
	v_mov_b32_e32 v25, v1
	v_lshrrev_b32_e32 v64, 21, v64
	v_lshrrev_b32_e32 v62, 21, v62
	;; [unrolled: 1-line block ×3, first 2 shown]
	v_lshlrev_b64_e32 v[26:27], 2, v[26:27]
	v_lshlrev_b64_e32 v[24:25], 2, v[24:25]
	v_mul_lo_u16 v64, 0x68, v64
	v_mul_lo_u16 v62, 0x68, v62
	ds_load_u16 v106, v51
	ds_load_u16 v107, v50
	ds_load_u16 v108, v50 offset:1248
	ds_load_u16 v109, v50 offset:1352
	;; [unrolled: 1-line block ×7, first 2 shown]
	ds_load_u16 v115, v53
	ds_load_u16 v116, v54
	;; [unrolled: 1-line block ×8, first 2 shown]
	ds_load_u16 v123, v50 offset:1976
	ds_load_u16 v124, v50 offset:2080
	;; [unrolled: 1-line block ×4, first 2 shown]
	ds_load_u16 v127, v61
	ds_load_u16 v128, v52
	ds_load_u16 v129, v50 offset:2392
	v_add_co_u32 v66, s0, s4, v26
	s_wait_alu 0xf1ff
	v_add_co_ci_u32_e64 v67, s0, s5, v27, s0
	v_lshrrev_b32_e32 v65, 21, v68
	v_add_co_u32 v68, s0, s4, v24
	v_mul_lo_u16 v63, 0x68, v63
	v_sub_nc_u16 v26, v17, v64
	v_sub_nc_u16 v27, v15, v62
	s_wait_alu 0xf1ff
	v_add_co_ci_u32_e64 v69, s0, s5, v25, s0
	v_sub_nc_u16 v64, v4, v63
	v_and_b32_e32 v62, 0xffff, v26
	v_and_b32_e32 v63, 0xffff, v27
	v_mul_lo_u16 v65, 0x68, v65
	v_lshl_add_u32 v22, v22, 1, 0
	v_and_b32_e32 v64, 0xffff, v64
	v_lshl_add_u32 v24, v71, 1, 0
	v_lshl_add_u32 v71, v72, 1, 0
	v_sub_nc_u16 v65, v6, v65
	v_lshl_add_u32 v72, v73, 1, 0
	v_lshl_add_u32 v73, v74, 1, 0
	;; [unrolled: 1-line block ×4, first 2 shown]
	v_and_b32_e32 v65, 0xffff, v65
	v_lshl_add_u32 v75, v75, 1, 0
	v_lshl_add_u32 v76, v76, 1, 0
	;; [unrolled: 1-line block ×3, first 2 shown]
	v_lshlrev_b32_e32 v79, 3, v62
	global_wb scope:SCOPE_SE
	s_wait_loadcnt_dscnt 0x0
	s_barrier_signal -1
	s_barrier_wait -1
	global_inv scope:SCOPE_SE
	v_lshl_add_u32 v62, v62, 1, 0
	v_lshrrev_b32_e32 v25, 16, v70
	s_delay_alu instid0(VALU_DEP_1) | instskip(SKIP_3) | instid1(VALU_DEP_4)
	v_mul_f16_e32 v26, v108, v25
	v_mul_f16_e32 v27, v101, v25
	v_mul_f16_e64 v130, v109, v25
	v_mul_f16_e32 v25, v100, v25
	v_fma_f16 v26, v101, v70, -v26
	s_delay_alu instid0(VALU_DEP_4) | instskip(NEXT) | instid1(VALU_DEP_4)
	v_fmac_f16_e32 v27, v108, v70
	v_fma_f16 v100, v100, v70, -v130
	s_delay_alu instid0(VALU_DEP_4) | instskip(NEXT) | instid1(VALU_DEP_4)
	v_fmac_f16_e32 v25, v109, v70
	v_sub_f16_e32 v26, v99, v26
	s_delay_alu instid0(VALU_DEP_4) | instskip(NEXT) | instid1(VALU_DEP_4)
	v_sub_f16_e32 v70, v107, v27
	v_sub_f16_e32 v27, v102, v100
	s_delay_alu instid0(VALU_DEP_4) | instskip(NEXT) | instid1(VALU_DEP_4)
	v_sub_f16_e64 v100, v128, v25
	v_fma_f16 v99, v99, 2.0, -v26
	s_delay_alu instid0(VALU_DEP_4) | instskip(NEXT) | instid1(VALU_DEP_4)
	v_fma_f16 v107, v107, 2.0, -v70
	v_fma_f16 v102, v102, 2.0, -v27
	s_delay_alu instid0(VALU_DEP_4)
	v_fma_f16 v128, v128, 2.0, -v100
	v_lshrrev_b32_e32 v25, 16, v91
	v_lshrrev_b32_e32 v101, 16, v92
	;; [unrolled: 1-line block ×10, first 2 shown]
	v_mul_f16_e64 v136, v110, v25
	v_mul_f16_e32 v25, v95, v25
	v_mul_f16_e64 v137, v111, v101
	v_mul_f16_e32 v101, v94, v101
	v_mul_f16_e64 v138, v112, v108
	v_mul_f16_e64 v141, v123, v131
	v_mul_f16_e64 v139, v113, v109
	v_mul_f16_e64 v140, v114, v130
	v_mul_f16_e64 v142, v124, v132
	v_mul_f16_e64 v132, v85, v132
	v_mul_f16_e64 v143, v125, v133
	v_mul_f16_e64 v133, v83, v133
	v_mul_f16_e64 v144, v126, v134
	v_mul_f16_e64 v145, v129, v135
	v_mul_f16_e32 v108, v93, v108
	v_mul_f16_e32 v109, v88, v109
	v_mul_f16_e64 v130, v89, v130
	v_mul_f16_e64 v131, v96, v131
	;; [unrolled: 1-line block ×4, first 2 shown]
	v_fma_f16 v95, v95, v91, -v136
	v_fmac_f16_e32 v25, v110, v91
	v_fma_f16 v91, v94, v92, -v137
	v_fmac_f16_e32 v101, v111, v92
	v_fma_f16 v92, v93, v97, -v138
	v_fma_f16 v93, v96, v105, -v141
	;; [unrolled: 1-line block ×5, first 2 shown]
	v_fmac_f16_e64 v132, v124, v80
	v_fma_f16 v80, v83, v81, -v143
	v_fmac_f16_e64 v133, v125, v81
	v_fma_f16 v81, v84, v86, -v144
	v_fma_f16 v83, v98, v90, -v145
	v_fmac_f16_e32 v108, v112, v97
	v_fmac_f16_e32 v109, v113, v103
	v_fmac_f16_e64 v130, v114, v104
	v_fmac_f16_e64 v131, v123, v105
	;; [unrolled: 1-line block ×4, first 2 shown]
	v_sub_f16_e32 v84, v87, v95
	v_sub_f16_e32 v93, v16, v93
	;; [unrolled: 1-line block ×14, first 2 shown]
	v_sub_f16_e64 v95, v118, v130
	v_sub_f16_e64 v96, v119, v131
	;; [unrolled: 1-line block ×6, first 2 shown]
	v_fma_f16 v87, v87, 2.0, -v84
	v_fma_f16 v16, v16, 2.0, -v93
	;; [unrolled: 1-line block ×10, first 2 shown]
	ds_store_b16 v50, v99
	ds_store_b16 v50, v26 offset:104
	ds_store_b16 v50, v102 offset:208
	;; [unrolled: 1-line block ×23, first 2 shown]
	v_lshlrev_b32_e32 v16, 3, v63
	v_fma_f16 v104, v106, 2.0, -v86
	v_lshlrev_b32_e32 v18, 3, v64
	v_fma_f16 v105, v115, 2.0, -v90
	v_fma_f16 v106, v116, 2.0, -v92
	;; [unrolled: 1-line block ×9, first 2 shown]
	global_wb scope:SCOPE_SE
	s_wait_dscnt 0x0
	s_barrier_signal -1
	s_barrier_wait -1
	global_inv scope:SCOPE_SE
	ds_load_u16 v26, v52
	ds_load_u16 v25, v51
	;; [unrolled: 1-line block ×9, first 2 shown]
	ds_load_u16 v83, v50 offset:936
	ds_load_u16 v84, v50 offset:1040
	ds_load_u16 v85, v50 offset:1144
	ds_load_u16 v87, v50 offset:1248
	ds_load_u16 v88, v50 offset:1352
	ds_load_u16 v89, v50 offset:1456
	ds_load_u16 v91, v50 offset:1560
	ds_load_u16 v93, v50 offset:1664
	ds_load_u16 v99, v50 offset:1768
	ds_load_u16 v102, v50 offset:1872
	ds_load_u16 v115, v50 offset:1976
	ds_load_u16 v116, v50 offset:2080
	ds_load_u16 v117, v50 offset:2184
	ds_load_u16 v118, v50 offset:2288
	ds_load_u16 v119, v50 offset:2392
	global_wb scope:SCOPE_SE
	s_wait_dscnt 0x0
	s_barrier_signal -1
	s_barrier_wait -1
	global_inv scope:SCOPE_SE
	ds_store_b16 v50, v107
	ds_store_b16 v50, v70 offset:104
	ds_store_b16 v50, v128 offset:208
	ds_store_b16 v50, v100 offset:312
	ds_store_b16 v22, v104 offset:416
	ds_store_b16 v22, v86 offset:520
	ds_store_b16 v24, v105 offset:624
	ds_store_b16 v24, v90 offset:728
	ds_store_b16 v71, v106 offset:832
	ds_store_b16 v71, v92 offset:936
	ds_store_b16 v72, v108 offset:1040
	ds_store_b16 v72, v94 offset:1144
	ds_store_b16 v73, v109 offset:1248
	ds_store_b16 v73, v95 offset:1352
	ds_store_b16 v74, v110 offset:1456
	ds_store_b16 v74, v96 offset:1560
	ds_store_b16 v78, v111 offset:1664
	ds_store_b16 v78, v97 offset:1768
	ds_store_b16 v75, v112 offset:1872
	ds_store_b16 v75, v98 offset:1976
	ds_store_b16 v76, v113 offset:2080
	ds_store_b16 v76, v101 offset:2184
	ds_store_b16 v77, v114 offset:2288
	ds_store_b16 v77, v103 offset:2392
	global_wb scope:SCOPE_SE
	s_wait_dscnt 0x0
	s_barrier_signal -1
	s_barrier_wait -1
	global_inv scope:SCOPE_SE
	s_clause 0x1
	global_load_b64 v[66:67], v[66:67], off offset:408
	global_load_b64 v[68:69], v[68:69], off offset:408
	v_lshlrev_b32_e32 v20, 3, v65
	s_clause 0x3
	global_load_b64 v[70:71], v79, s[4:5] offset:408
	global_load_b64 v[72:73], v16, s[4:5] offset:408
	;; [unrolled: 1-line block ×4, first 2 shown]
	v_mov_b32_e32 v24, v1
	v_mov_b32_e32 v22, v1
	;; [unrolled: 1-line block ×5, first 2 shown]
	v_lshlrev_b64_e32 v[23:24], 2, v[23:24]
	v_lshlrev_b64_e32 v[21:22], 2, v[21:22]
	;; [unrolled: 1-line block ×5, first 2 shown]
	v_lshl_add_u32 v63, v63, 1, 0
	v_add_co_u32 v15, s0, s4, v23
	s_wait_alu 0xf1ff
	v_add_co_ci_u32_e64 v16, s0, s5, v24, s0
	v_add_co_u32 v17, s0, s4, v21
	s_wait_alu 0xf1ff
	v_add_co_ci_u32_e64 v18, s0, s5, v22, s0
	;; [unrolled: 3-line block ×5, first 2 shown]
	ds_load_u16 v78, v52
	ds_load_u16 v79, v51
	;; [unrolled: 1-line block ×9, first 2 shown]
	ds_load_u16 v96, v50 offset:936
	ds_load_u16 v97, v50 offset:1040
	ds_load_u16 v98, v50 offset:1144
	ds_load_u16 v100, v50 offset:1248
	ds_load_u16 v101, v50 offset:1352
	ds_load_u16 v103, v50 offset:1456
	ds_load_u16 v104, v50 offset:1560
	ds_load_u16 v105, v50 offset:1664
	ds_load_u16 v106, v50 offset:1768
	ds_load_u16 v107, v50 offset:1872
	ds_load_u16 v108, v50 offset:1976
	ds_load_u16 v109, v50 offset:2080
	ds_load_u16 v110, v50 offset:2184
	ds_load_u16 v111, v50 offset:2288
	ds_load_u16 v112, v50 offset:2392
	v_lshl_add_u32 v64, v64, 1, 0
	v_lshl_add_u32 v65, v65, 1, 0
	global_wb scope:SCOPE_SE
	s_wait_loadcnt_dscnt 0x0
	s_barrier_signal -1
	s_barrier_wait -1
	global_inv scope:SCOPE_SE
	v_lshrrev_b32_e32 v113, 16, v66
	v_lshrrev_b32_e32 v114, 16, v67
	v_lshrrev_b32_e32 v120, 16, v68
	v_lshrrev_b32_e32 v121, 16, v69
	v_lshrrev_b32_e32 v122, 16, v70
	v_lshrrev_b32_e32 v123, 16, v71
	v_lshrrev_b32_e32 v124, 16, v72
	v_lshrrev_b32_e32 v125, 16, v73
	v_lshrrev_b32_e32 v126, 16, v74
	v_lshrrev_b32_e32 v127, 16, v75
	v_lshrrev_b32_e32 v128, 16, v76
	v_lshrrev_b32_e32 v129, 16, v77
	v_mul_f16_e64 v130, v92, v113
	v_mul_f16_e64 v131, v82, v113
	;; [unrolled: 1-line block ×9, first 2 shown]
	v_mul_f16_e32 v113, v84, v113
	v_mul_f16_e64 v139, v107, v114
	v_mul_f16_e32 v114, v102, v114
	v_mul_f16_e64 v140, v98, v120
	;; [unrolled: 2-line block ×10, first 2 shown]
	v_mul_f16_e64 v128, v91, v128
	v_mul_f16_e64 v149, v112, v129
	;; [unrolled: 1-line block ×3, first 2 shown]
	v_fma_f16 v82, v82, v66, -v130
	v_fmac_f16_e64 v131, v92, v66
	v_fma_f16 v92, v93, v67, -v132
	v_fmac_f16_e64 v133, v105, v67
	;; [unrolled: 2-line block ×4, first 2 shown]
	v_fma_f16 v84, v84, v66, -v138
	v_fmac_f16_e32 v113, v97, v66
	v_fma_f16 v66, v102, v67, -v139
	v_fmac_f16_e32 v114, v107, v67
	;; [unrolled: 2-line block ×10, first 2 shown]
	v_fma_f16 v75, v91, v76, -v148
	v_fmac_f16_e64 v128, v104, v76
	v_fma_f16 v76, v119, v77, -v149
	v_fmac_f16_e64 v129, v112, v77
	v_add_f16_e32 v85, v82, v92
	v_add_f16_e64 v89, v131, v133
	v_sub_f16_e64 v87, v131, v133
	v_add_f16_e64 v88, v95, v131
	v_add_f16_e32 v96, v83, v93
	v_add_f16_e64 v99, v135, v137
	v_add_f16_e32 v101, v84, v66
	v_add_f16_e32 v104, v113, v114
	;; [unrolled: 1-line block ×3, first 2 shown]
	v_sub_f16_e32 v107, v120, v121
	v_add_f16_e32 v108, v80, v120
	v_add_f16_e32 v109, v120, v121
	;; [unrolled: 1-line block ×5, first 2 shown]
	v_sub_f16_e32 v118, v124, v125
	v_add_f16_e32 v119, v86, v124
	v_add_f16_e32 v120, v124, v125
	;; [unrolled: 1-line block ×3, first 2 shown]
	v_sub_f16_e64 v130, v126, v127
	v_add_f16_e64 v131, v90, v126
	v_add_f16_e32 v126, v126, v127
	v_add_f16_e64 v134, v75, v76
	v_add_f16_e32 v77, v27, v82
	v_sub_f16_e64 v97, v135, v137
	v_add_f16_e64 v98, v78, v135
	v_sub_f16_e64 v135, v128, v129
	v_add_f16_e64 v136, v94, v128
	v_add_f16_e64 v128, v128, v129
	v_sub_f16_e32 v82, v82, v92
	v_add_f16_e32 v100, v25, v84
	v_fmac_f16_e32 v27, -0.5, v85
	v_fmac_f16_e32 v95, -0.5, v89
	v_add_f16_e32 v91, v26, v83
	v_sub_f16_e32 v83, v83, v93
	v_sub_f16_e32 v102, v113, v114
	v_add_f16_e32 v103, v79, v113
	v_sub_f16_e32 v84, v84, v66
	v_add_f16_e32 v105, v13, v67
	;; [unrolled: 2-line block ×6, first 2 shown]
	v_sub_f16_e32 v73, v73, v74
	v_add_f16_e64 v132, v5, v75
	v_fmac_f16_e32 v26, -0.5, v96
	v_fmac_f16_e32 v78, -0.5, v99
	;; [unrolled: 1-line block ×12, first 2 shown]
	v_fmac_f16_e64 v5, -0.5, v134
	v_sub_f16_e32 v75, v75, v76
	v_add_f16_e32 v77, v77, v92
	v_add_f16_e64 v85, v88, v133
	v_fmac_f16_e64 v94, -0.5, v128
	v_add_f16_e32 v66, v100, v66
	v_fmamk_f16 v100, v87, 0x3aee, v27
	v_fmac_f16_e32 v27, 0xbaee, v87
	v_fmamk_f16 v87, v82, 0xbaee, v95
	v_fmac_f16_e32 v95, 0x3aee, v82
	v_add_f16_e32 v88, v91, v93
	v_add_f16_e64 v89, v98, v137
	v_add_f16_e32 v91, v103, v114
	v_add_f16_e32 v68, v105, v68
	;; [unrolled: 1-line block ×5, first 2 shown]
	v_add_f16_e64 v76, v132, v76
	v_fmamk_f16 v82, v97, 0x3aee, v26
	v_fmac_f16_e32 v26, 0xbaee, v97
	v_fmamk_f16 v97, v83, 0xbaee, v78
	v_fmac_f16_e32 v78, 0x3aee, v83
	;; [unrolled: 2-line block ×10, first 2 shown]
	v_fma_f16 v71, 0x3aee, v130, v7
	v_fmac_f16_e64 v7, 0xbaee, v130
	v_fmamk_f16 v105, v73, 0xbaee, v90
	v_fmac_f16_e32 v90, 0x3aee, v73
	v_fma_f16 v73, 0x3aee, v135, v5
	v_fmac_f16_e64 v5, 0xbaee, v135
	v_add_f16_e32 v92, v108, v121
	v_add_f16_e32 v93, v113, v123
	;; [unrolled: 1-line block ×3, first 2 shown]
	v_add_f16_e64 v98, v131, v127
	v_add_f16_e64 v99, v136, v129
	v_fmamk_f16 v106, v75, 0xbaee, v94
	v_fmac_f16_e32 v94, 0x3aee, v75
	ds_store_b16 v50, v77
	ds_store_b16 v50, v100 offset:208
	ds_store_b16 v50, v27 offset:416
	ds_store_b16 v52, v88
	ds_store_b16 v52, v82 offset:208
	ds_store_b16 v52, v26 offset:416
	;; [unrolled: 1-line block ×20, first 2 shown]
	global_wb scope:SCOPE_SE
	s_wait_dscnt 0x0
	s_barrier_signal -1
	s_barrier_wait -1
	global_inv scope:SCOPE_SE
	ds_load_u16 v5, v51
	ds_load_u16 v7, v53
	;; [unrolled: 1-line block ×3, first 2 shown]
	ds_load_u16 v11, v50 offset:1248
	ds_load_u16 v13, v50 offset:1352
	;; [unrolled: 1-line block ×11, first 2 shown]
	ds_load_u16 v72, v54
	ds_load_u16 v73, v55
	;; [unrolled: 1-line block ×9, first 2 shown]
	ds_load_u16 v88, v50 offset:2392
	global_wb scope:SCOPE_SE
	s_wait_dscnt 0x0
	s_barrier_signal -1
	s_barrier_wait -1
	global_inv scope:SCOPE_SE
	ds_store_b16 v50, v85
	ds_store_b16 v50, v87 offset:208
	ds_store_b16 v50, v95 offset:416
	ds_store_b16 v52, v89
	ds_store_b16 v52, v97 offset:208
	ds_store_b16 v52, v78 offset:416
	;; [unrolled: 1-line block ×20, first 2 shown]
	global_wb scope:SCOPE_SE
	s_wait_dscnt 0x0
	s_barrier_signal -1
	s_barrier_wait -1
	global_inv scope:SCOPE_SE
	s_clause 0x5
	global_load_b32 v62, v[28:29], off offset:1240
	global_load_b32 v63, v[15:16], off offset:1240
	;; [unrolled: 1-line block ×6, first 2 shown]
	ds_load_u16 v80, v51
	ds_load_u16 v81, v50
	ds_load_u16 v85, v50 offset:1248
	ds_load_u16 v86, v50 offset:1352
	;; [unrolled: 1-line block ×7, first 2 shown]
	ds_load_u16 v93, v53
	ds_load_u16 v94, v54
	;; [unrolled: 1-line block ×8, first 2 shown]
	ds_load_u16 v101, v50 offset:1976
	ds_load_u16 v102, v50 offset:2080
	;; [unrolled: 1-line block ×4, first 2 shown]
	ds_load_u16 v105, v61
	ds_load_u16 v106, v52
	ds_load_u16 v107, v50 offset:2392
	global_wb scope:SCOPE_SE
	s_wait_loadcnt_dscnt 0x0
	s_barrier_signal -1
	s_barrier_wait -1
	global_inv scope:SCOPE_SE
	v_lshrrev_b32_e32 v108, 16, v62
	v_lshrrev_b32_e32 v109, 16, v63
	;; [unrolled: 1-line block ×6, first 2 shown]
	v_mul_f16_e32 v114, v85, v108
	v_mul_f16_e32 v116, v86, v109
	;; [unrolled: 1-line block ×14, first 2 shown]
	v_mul_f16_e64 v128, v102, v110
	v_mul_f16_e32 v110, v69, v110
	v_mul_f16_e64 v129, v103, v111
	v_mul_f16_e32 v111, v70, v111
	v_mul_f16_e64 v130, v104, v112
	v_mul_f16_e64 v131, v107, v113
	v_fma_f16 v11, v11, v62, -v114
	v_fma_f16 v13, v13, v63, -v116
	v_mul_f16_e32 v123, v27, v112
	v_mul_f16_e32 v125, v66, v113
	v_fmac_f16_e32 v115, v85, v62
	v_fmac_f16_e32 v117, v86, v63
	v_fma_f16 v25, v25, v64, -v118
	v_fmac_f16_e32 v119, v87, v64
	v_fma_f16 v26, v26, v65, -v120
	;; [unrolled: 2-line block ×3, first 2 shown]
	v_fma_f16 v66, v66, v79, -v124
	v_fma_f16 v67, v67, v62, -v126
	v_fmac_f16_e32 v108, v92, v62
	v_fma_f16 v62, v68, v63, -v127
	v_fmac_f16_e32 v109, v101, v63
	;; [unrolled: 2-line block ×4, first 2 shown]
	v_fma_f16 v65, v71, v78, -v130
	v_fma_f16 v68, v88, v79, -v131
	v_sub_f16_e32 v11, v9, v11
	v_sub_f16_e32 v13, v84, v13
	;; [unrolled: 1-line block ×11, first 2 shown]
	v_mul_f16_e32 v112, v71, v112
	v_mul_f16_e32 v113, v88, v113
	v_sub_f16_e32 v85, v81, v115
	v_sub_f16_e32 v86, v106, v117
	;; [unrolled: 1-line block ×4, first 2 shown]
	v_fma_f16 v9, v9, 2.0, -v11
	v_fma_f16 v69, v84, 2.0, -v13
	;; [unrolled: 1-line block ×11, first 2 shown]
	v_fmac_f16_e32 v123, v90, v78
	v_fmac_f16_e32 v125, v91, v79
	;; [unrolled: 1-line block ×4, first 2 shown]
	v_fma_f16 v107, v81, 2.0, -v85
	v_fma_f16 v84, v106, 2.0, -v86
	;; [unrolled: 1-line block ×4, first 2 shown]
	ds_store_b16 v50, v9
	ds_store_b16 v50, v11 offset:624
	ds_store_b16 v52, v69
	ds_store_b16 v52, v13 offset:624
	;; [unrolled: 2-line block ×6, first 2 shown]
	ds_store_b16 v50, v72 offset:1248
	ds_store_b16 v50, v67 offset:1872
	;; [unrolled: 1-line block ×12, first 2 shown]
	global_wb scope:SCOPE_SE
	s_wait_dscnt 0x0
	s_barrier_signal -1
	s_barrier_wait -1
	global_inv scope:SCOPE_SE
	ds_load_u16 v70, v51
	ds_load_u16 v72, v53
	;; [unrolled: 1-line block ×3, first 2 shown]
	ds_load_u16 v77, v50 offset:1248
	ds_load_u16 v78, v50 offset:1352
	;; [unrolled: 1-line block ×11, first 2 shown]
	ds_load_u16 v74, v54
	ds_load_u16 v75, v55
	;; [unrolled: 1-line block ×9, first 2 shown]
	ds_load_u16 v73, v50 offset:2392
	v_sub_f16_e32 v88, v93, v121
	v_sub_f16_e32 v89, v94, v123
	;; [unrolled: 1-line block ×9, first 2 shown]
	v_fma_f16 v93, v93, 2.0, -v88
	v_fma_f16 v94, v94, 2.0, -v89
	;; [unrolled: 1-line block ×9, first 2 shown]
	global_wb scope:SCOPE_SE
	s_wait_dscnt 0x0
	s_barrier_signal -1
	s_barrier_wait -1
	global_inv scope:SCOPE_SE
	ds_store_b16 v50, v107
	ds_store_b16 v50, v85 offset:624
	ds_store_b16 v52, v84
	ds_store_b16 v52, v86 offset:624
	;; [unrolled: 2-line block ×6, first 2 shown]
	ds_store_b16 v50, v96 offset:1248
	ds_store_b16 v50, v91 offset:1872
	;; [unrolled: 1-line block ×12, first 2 shown]
	global_wb scope:SCOPE_SE
	s_wait_dscnt 0x0
	s_barrier_signal -1
	s_barrier_wait -1
	global_inv scope:SCOPE_SE
	s_and_saveexec_b32 s0, vcc_lo
	s_cbranch_execz .LBB0_23
; %bb.22:
	s_clause 0x5
	global_load_b32 v90, v[23:24], off offset:2488
	global_load_b32 v91, v[21:22], off offset:2488
	;; [unrolled: 1-line block ×6, first 2 shown]
	v_mov_b32_e32 v15, v1
	v_mov_b32_e32 v13, v1
	;; [unrolled: 1-line block ×5, first 2 shown]
	v_lshlrev_b64_e32 v[14:15], 2, v[14:15]
	v_lshlrev_b64_e32 v[12:13], 2, v[12:13]
	;; [unrolled: 1-line block ×4, first 2 shown]
	v_mov_b32_e32 v5, v1
	v_lshlrev_b64_e32 v[6:7], 2, v[6:7]
	v_add_co_u32 v14, vcc_lo, s4, v14
	s_wait_alu 0xfffd
	v_add_co_ci_u32_e32 v15, vcc_lo, s5, v15, vcc_lo
	v_add_co_u32 v12, vcc_lo, s4, v12
	s_wait_alu 0xfffd
	v_add_co_ci_u32_e32 v13, vcc_lo, s5, v13, vcc_lo
	;; [unrolled: 3-line block ×3, first 2 shown]
	v_lshlrev_b64_e32 v[4:5], 2, v[4:5]
	v_add_co_u32 v8, vcc_lo, s4, v8
	s_wait_alu 0xfffd
	v_add_co_ci_u32_e32 v9, vcc_lo, s5, v9, vcc_lo
	v_add_co_u32 v6, vcc_lo, s4, v6
	s_wait_alu 0xfffd
	v_add_co_ci_u32_e32 v7, vcc_lo, s5, v7, vcc_lo
	;; [unrolled: 3-line block ×3, first 2 shown]
	s_clause 0x5
	global_load_b32 v96, v[14:15], off offset:2488
	global_load_b32 v97, v[12:13], off offset:2488
	;; [unrolled: 1-line block ×6, first 2 shown]
	v_mad_co_u64_u32 v[4:5], null, s8, v0, 0
	v_mad_co_u64_u32 v[6:7], null, s8, v49, 0
	v_add_co_u32 v1, vcc_lo, s10, v2
	v_mad_co_u64_u32 v[8:9], null, s8, v42, 0
	s_wait_alu 0xfffd
	v_add_co_ci_u32_e32 v2, vcc_lo, s11, v3, vcc_lo
	v_mad_co_u64_u32 v[10:11], null, s8, v48, 0
	v_mad_co_u64_u32 v[12:13], null, s8, v41, 0
	;; [unrolled: 1-line block ×3, first 2 shown]
	v_mov_b32_e32 v3, v5
	v_mad_co_u64_u32 v[16:17], null, s8, v39, 0
	v_mad_co_u64_u32 v[18:19], null, s8, v46, 0
	v_mad_co_u64_u32 v[20:21], null, s8, v37, 0
	ds_load_u16 v102, v61
	ds_load_u16 v103, v51
	;; [unrolled: 1-line block ×3, first 2 shown]
	ds_load_u16 v105, v50 offset:2392
	ds_load_u16 v106, v50 offset:2288
	;; [unrolled: 1-line block ×5, first 2 shown]
	ds_load_u16 v110, v60
	ds_load_u16 v111, v59
	;; [unrolled: 1-line block ×8, first 2 shown]
	ds_load_u16 v118, v50 offset:1872
	ds_load_u16 v119, v50 offset:1768
	;; [unrolled: 1-line block ×7, first 2 shown]
	ds_load_u16 v125, v50
	v_mad_co_u64_u32 v[22:23], null, s8, v45, 0
	v_mad_co_u64_u32 v[28:29], null, s8, v36, 0
	;; [unrolled: 1-line block ×3, first 2 shown]
	v_mov_b32_e32 v5, v7
	v_mad_co_u64_u32 v[60:61], null, s9, v0, v[3:4]
	v_mov_b32_e32 v7, v9
	v_mad_co_u64_u32 v[52:53], null, s8, v40, 0
	v_mad_co_u64_u32 v[54:55], null, s8, v43, 0
	v_mov_b32_e32 v9, v11
	v_mov_b32_e32 v11, v13
	;; [unrolled: 1-line block ×3, first 2 shown]
	v_mad_co_u64_u32 v[83:84], null, s9, v49, v[5:6]
	v_mov_b32_e32 v15, v17
	v_mov_b32_e32 v17, v19
	;; [unrolled: 1-line block ×4, first 2 shown]
	v_dual_mov_b32 v23, v29 :: v_dual_mov_b32 v24, v51
	v_mad_co_u64_u32 v[84:85], null, s9, v42, v[7:8]
	v_mad_co_u64_u32 v[85:86], null, s9, v47, v[13:14]
	v_mov_b32_e32 v5, v60
	v_mad_co_u64_u32 v[48:49], null, s9, v48, v[9:10]
	v_mad_co_u64_u32 v[86:87], null, s9, v39, v[15:16]
	;; [unrolled: 1-line block ×4, first 2 shown]
	v_mov_b32_e32 v29, v53
	v_mov_b32_e32 v51, v55
	v_mad_co_u64_u32 v[41:42], null, s9, v41, v[11:12]
	v_mad_co_u64_u32 v[46:47], null, s9, v46, v[17:18]
	;; [unrolled: 1-line block ×5, first 2 shown]
	v_mov_b32_e32 v7, v83
	v_lshlrev_b64_e32 v[3:4], 2, v[4:5]
	v_mov_b32_e32 v9, v84
	v_mad_co_u64_u32 v[39:40], null, s9, v40, v[29:30]
	v_mad_co_u64_u32 v[42:43], null, s9, v43, v[51:52]
	v_lshlrev_b64_e32 v[5:6], 2, v[6:7]
	v_mov_b32_e32 v11, v48
	v_mov_b32_e32 v53, v57
	;; [unrolled: 1-line block ×10, first 2 shown]
	v_lshlrev_b64_e32 v[7:8], 2, v[8:9]
	v_add_co_u32 v3, vcc_lo, v1, v3
	s_wait_alu 0xfffd
	v_add_co_ci_u32_e32 v4, vcc_lo, v2, v4, vcc_lo
	v_lshlrev_b64_e32 v[9:10], 2, v[10:11]
	v_add_co_u32 v5, vcc_lo, v1, v5
	v_mad_co_u64_u32 v[37:38], null, s9, v38, v[53:54]
	v_mov_b32_e32 v53, v39
	v_mov_b32_e32 v55, v42
	v_lshlrev_b64_e32 v[11:12], 2, v[12:13]
	v_lshlrev_b64_e32 v[13:14], 2, v[14:15]
	;; [unrolled: 1-line block ×8, first 2 shown]
	s_wait_alu 0xfffd
	v_add_co_ci_u32_e32 v6, vcc_lo, v2, v6, vcc_lo
	v_add_co_u32 v7, vcc_lo, v1, v7
	s_wait_alu 0xfffd
	v_add_co_ci_u32_e32 v8, vcc_lo, v2, v8, vcc_lo
	v_add_co_u32 v9, vcc_lo, v1, v9
	v_lshlrev_b64_e32 v[38:39], 2, v[52:53]
	s_wait_alu 0xfffd
	v_add_co_ci_u32_e32 v10, vcc_lo, v2, v10, vcc_lo
	v_add_co_u32 v11, vcc_lo, v1, v11
	s_wait_alu 0xfffd
	v_add_co_ci_u32_e32 v12, vcc_lo, v2, v12, vcc_lo
	v_add_co_u32 v13, vcc_lo, v1, v13
	;; [unrolled: 3-line block ×6, first 2 shown]
	v_lshlrev_b64_e32 v[40:41], 2, v[54:55]
	s_wait_alu 0xfffd
	v_add_co_ci_u32_e32 v22, vcc_lo, v2, v22, vcc_lo
	v_add_co_u32 v23, vcc_lo, v1, v23
	s_wait_alu 0xfffd
	v_add_co_ci_u32_e32 v24, vcc_lo, v2, v24, vcc_lo
	v_add_co_u32 v28, vcc_lo, v1, v28
	s_wait_alu 0xfffd
	v_add_co_ci_u32_e32 v29, vcc_lo, v2, v29, vcc_lo
	v_mad_co_u64_u32 v[58:59], null, s8, v35, 0
	v_add_co_u32 v38, vcc_lo, v1, v38
	s_wait_alu 0xfffd
	v_add_co_ci_u32_e32 v39, vcc_lo, v2, v39, vcc_lo
	s_wait_loadcnt 0xb
	v_lshrrev_b32_e32 v0, 16, v90
	s_wait_dscnt 0x6
	v_mul_f16_e32 v36, v90, v119
	s_wait_loadcnt 0xa
	v_lshrrev_b32_e32 v42, 16, v91
	s_wait_dscnt 0x5
	v_mul_f16_e32 v43, v91, v120
	;; [unrolled: 4-line block ×6, first 2 shown]
	v_mul_f16_e32 v52, v0, v119
	v_fmac_f16_e32 v36, v82, v0
	v_mul_f16_e32 v0, v42, v120
	v_fmac_f16_e32 v43, v81, v42
	;; [unrolled: 2-line block ×6, first 2 shown]
	v_fma_f16 v44, v79, v93, -v44
	v_fma_f16 v46, v78, v94, -v46
	;; [unrolled: 1-line block ×6, first 2 shown]
	s_wait_dscnt 0x0
	v_sub_f16_e32 v51, v125, v51
	v_sub_f16_e32 v49, v104, v49
	;; [unrolled: 1-line block ×12, first 2 shown]
	v_fma_f16 v60, v125, 2.0, -v51
	s_wait_loadcnt 0x0
	v_lshrrev_b32_e32 v86, 16, v101
	v_mul_f16_e32 v87, v101, v118
	v_fma_f16 v71, v71, 2.0, -v48
	v_pack_b32_f16 v48, v48, v51
	v_fma_f16 v57, v104, 2.0, -v49
	v_mul_f16_e32 v51, v86, v118
	v_fma_f16 v76, v76, 2.0, -v46
	v_fma_f16 v55, v103, 2.0, -v47
	;; [unrolled: 1-line block ×9, first 2 shown]
	v_fmac_f16_e32 v87, v65, v86
	v_pack_b32_f16 v60, v71, v60
	v_fma_f16 v51, v65, v101, -v51
	v_pack_b32_f16 v57, v76, v57
	v_pack_b32_f16 v46, v46, v49
	;; [unrolled: 1-line block ×10, first 2 shown]
	v_sub_f16_e32 v65, v114, v87
	s_clause 0xb
	global_store_b32 v[3:4], v60, off
	global_store_b32 v[5:6], v48, off
	;; [unrolled: 1-line block ×12, first 2 shown]
	v_sub_f16_e32 v7, v63, v51
	v_lshrrev_b32_e32 v84, 16, v100
	v_mul_f16_e32 v85, v100, v109
	v_fma_f16 v0, v114, 2.0, -v65
	v_mov_b32_e32 v57, v37
	v_fma_f16 v3, v63, 2.0, -v7
	v_mul_f16_e32 v50, v84, v109
	v_fmac_f16_e32 v85, v66, v84
	v_add_co_u32 v5, vcc_lo, v1, v40
	s_delay_alu instid0(VALU_DEP_4) | instskip(NEXT) | instid1(VALU_DEP_4)
	v_pack_b32_f16 v0, v3, v0
	v_fma_f16 v50, v66, v100, -v50
	v_mad_co_u64_u32 v[3:4], null, s8, v33, 0
	v_sub_f16_e32 v66, v113, v85
	global_store_b32 v[38:39], v0, off
	v_mov_b32_e32 v0, v59
	v_sub_f16_e32 v21, v25, v50
	v_pack_b32_f16 v28, v7, v65
	v_lshlrev_b64_e32 v[7:8], 2, v[56:57]
	v_fma_f16 v22, v113, 2.0, -v66
	v_mad_co_u64_u32 v[9:10], null, s9, v35, v[0:1]
	v_lshrrev_b32_e32 v0, 4, v32
	v_fma_f16 v25, v25, 2.0, -v21
	v_mad_co_u64_u32 v[10:11], null, s9, v33, v[4:5]
	v_mad_co_u64_u32 v[11:12], null, s8, v34, 0
	s_delay_alu instid0(VALU_DEP_4)
	v_mul_hi_u32 v0, 0x1a41a41b, v0
	s_wait_alu 0xfffd
	v_add_co_ci_u32_e32 v6, vcc_lo, v2, v41, vcc_lo
	v_add_co_u32 v7, vcc_lo, v1, v7
	s_wait_alu 0xfffd
	v_add_co_ci_u32_e32 v8, vcc_lo, v2, v8, vcc_lo
	v_pack_b32_f16 v22, v25, v22
	v_mov_b32_e32 v59, v9
	v_lshrrev_b32_e32 v9, 2, v0
	v_mov_b32_e32 v0, v12
	s_clause 0x1
	global_store_b32 v[5:6], v28, off
	global_store_b32 v[7:8], v22, off
	v_lshrrev_b32_e32 v82, 16, v99
	v_mad_u32_u24 v22, 0x270, v9, v32
	v_mad_co_u64_u32 v[7:8], null, s9, v34, v[0:1]
	v_mul_f16_e32 v83, v99, v108
	s_delay_alu instid0(VALU_DEP_4) | instskip(NEXT) | instid1(VALU_DEP_4)
	v_mul_f16_e32 v49, v82, v108
	v_mad_co_u64_u32 v[8:9], null, s8, v22, 0
	v_mov_b32_e32 v4, v10
	s_delay_alu instid0(VALU_DEP_4) | instskip(NEXT) | instid1(VALU_DEP_4)
	v_fmac_f16_e32 v83, v67, v82
	v_fma_f16 v49, v67, v99, -v49
	v_lshlrev_b64_e32 v[5:6], 2, v[58:59]
	v_mov_b32_e32 v12, v7
	v_lshrrev_b32_e32 v7, 4, v31
	v_mov_b32_e32 v0, v9
	v_sub_f16_e32 v67, v112, v83
	v_sub_f16_e32 v16, v26, v49
	v_lshlrev_b64_e32 v[3:4], 2, v[3:4]
	v_lshlrev_b64_e32 v[9:10], 2, v[11:12]
	v_mad_co_u64_u32 v[11:12], null, s9, v22, v[0:1]
	v_mul_hi_u32 v0, 0x1a41a41b, v7
	v_add_co_u32 v5, vcc_lo, v1, v5
	v_fma_f16 v13, v112, 2.0, -v67
	v_fma_f16 v26, v26, 2.0, -v16
	s_wait_alu 0xfffd
	v_add_co_ci_u32_e32 v6, vcc_lo, v2, v6, vcc_lo
	v_add_co_u32 v3, vcc_lo, v1, v3
	s_wait_alu 0xfffd
	v_add_co_ci_u32_e32 v4, vcc_lo, v2, v4, vcc_lo
	v_add_co_u32 v12, vcc_lo, v1, v9
	v_pack_b32_f16 v21, v21, v66
	v_pack_b32_f16 v25, v26, v13
	v_lshrrev_b32_e32 v0, 2, v0
	s_wait_alu 0xfffd
	v_add_co_ci_u32_e32 v13, vcc_lo, v2, v10, vcc_lo
	v_pack_b32_f16 v7, v16, v67
	v_mov_b32_e32 v9, v11
	v_add_nc_u32_e32 v11, 0x270, v22
	v_lshrrev_b32_e32 v80, 16, v98
	s_clause 0x2
	global_store_b32 v[5:6], v21, off
	global_store_b32 v[3:4], v25, off
	;; [unrolled: 1-line block ×3, first 2 shown]
	v_mad_u32_u24 v13, 0x270, v0, v31
	v_lshrrev_b32_e32 v0, 4, v30
	v_mad_co_u64_u32 v[5:6], null, s8, v11, 0
	v_mul_f16_e32 v81, v98, v107
	v_mul_f16_e32 v47, v80, v107
	v_add_nc_u32_e32 v16, 0x270, v13
	v_mul_hi_u32 v12, 0x1a41a41b, v0
	v_lshlrev_b64_e32 v[3:4], 2, v[8:9]
	v_fmac_f16_e32 v81, v68, v80
	v_fma_f16 v47, v68, v98, -v47
	v_mad_co_u64_u32 v[7:8], null, s8, v13, 0
	v_mov_b32_e32 v0, v6
	v_mad_co_u64_u32 v[9:10], null, s8, v16, 0
	v_sub_f16_e32 v68, v111, v81
	v_sub_f16_e32 v15, v27, v47
	v_lshrrev_b32_e32 v21, 2, v12
	v_mad_co_u64_u32 v[11:12], null, s9, v11, v[0:1]
	v_mov_b32_e32 v6, v8
	v_fma_f16 v14, v111, 2.0, -v68
	v_fma_f16 v27, v27, 2.0, -v15
	v_mad_u32_u24 v21, 0x270, v21, v30
	v_mov_b32_e32 v0, v10
	v_add_co_u32 v3, vcc_lo, v1, v3
	v_mad_co_u64_u32 v[12:13], null, s9, v13, v[6:7]
	s_wait_alu 0xfffd
	v_add_co_ci_u32_e32 v4, vcc_lo, v2, v4, vcc_lo
	v_pack_b32_f16 v8, v27, v14
	v_mad_co_u64_u32 v[13:14], null, s8, v21, 0
	v_mov_b32_e32 v6, v11
	v_mad_co_u64_u32 v[10:11], null, s9, v16, v[0:1]
	v_add_nc_u32_e32 v16, 0x270, v21
	global_store_b32 v[3:4], v8, off
	v_lshlrev_b64_e32 v[3:4], 2, v[5:6]
	v_mov_b32_e32 v0, v14
	v_lshrrev_b32_e32 v78, 16, v97
	v_mad_co_u64_u32 v[5:6], null, s8, v16, 0
	v_lshrrev_b32_e32 v61, 16, v96
	v_mov_b32_e32 v8, v12
	v_mad_co_u64_u32 v[11:12], null, s9, v21, v[0:1]
	v_mul_f16_e32 v79, v97, v106
	v_mul_f16_e32 v45, v78, v106
	v_mov_b32_e32 v0, v6
	v_mul_f16_e32 v77, v96, v105
	v_mul_f16_e32 v43, v61, v105
	v_pack_b32_f16 v21, v15, v68
	v_lshlrev_b64_e32 v[6:7], 2, v[7:8]
	v_mad_co_u64_u32 v[15:16], null, s9, v16, v[0:1]
	v_fmac_f16_e32 v79, v69, v78
	v_fma_f16 v45, v69, v97, -v45
	v_fmac_f16_e32 v77, v73, v61
	v_fma_f16 v43, v73, v96, -v43
	v_add_co_u32 v3, vcc_lo, v1, v3
	v_mov_b32_e32 v14, v11
	s_wait_alu 0xfffd
	v_add_co_ci_u32_e32 v4, vcc_lo, v2, v4, vcc_lo
	v_lshlrev_b64_e32 v[8:9], 2, v[9:10]
	v_sub_f16_e32 v69, v110, v79
	v_sub_f16_e32 v19, v62, v45
	v_add_co_u32 v10, vcc_lo, v1, v6
	v_mov_b32_e32 v6, v15
	v_sub_f16_e32 v61, v102, v77
	v_sub_f16_e32 v17, v64, v43
	v_lshlrev_b64_e32 v[12:13], 2, v[13:14]
	s_wait_alu 0xfffd
	v_add_co_ci_u32_e32 v11, vcc_lo, v2, v7, vcc_lo
	v_fma_f16 v20, v110, 2.0, -v69
	v_fma_f16 v24, v62, 2.0, -v19
	v_add_co_u32 v7, vcc_lo, v1, v8
	v_lshlrev_b64_e32 v[5:6], 2, v[5:6]
	v_fma_f16 v18, v102, 2.0, -v61
	v_fma_f16 v23, v64, 2.0, -v17
	s_wait_alu 0xfffd
	v_add_co_ci_u32_e32 v8, vcc_lo, v2, v9, vcc_lo
	v_add_co_u32 v12, vcc_lo, v1, v12
	v_pack_b32_f16 v16, v24, v20
	s_wait_alu 0xfffd
	v_add_co_ci_u32_e32 v13, vcc_lo, v2, v13, vcc_lo
	v_pack_b32_f16 v9, v19, v69
	v_add_co_u32 v0, vcc_lo, v1, v5
	v_pack_b32_f16 v14, v23, v18
	s_wait_alu 0xfffd
	v_add_co_ci_u32_e32 v1, vcc_lo, v2, v6, vcc_lo
	v_pack_b32_f16 v2, v17, v61
	s_clause 0x4
	global_store_b32 v[3:4], v21, off
	global_store_b32 v[10:11], v16, off
	;; [unrolled: 1-line block ×5, first 2 shown]
.LBB0_23:
	s_nop 0
	s_sendmsg sendmsg(MSG_DEALLOC_VGPRS)
	s_endpgm
	.section	.rodata,"a",@progbits
	.p2align	6, 0x0
	.amdhsa_kernel fft_rtc_fwd_len1248_factors_2_2_13_2_3_2_2_wgs_52_tpt_52_halfLds_half_ip_CI_sbrr_dirReg
		.amdhsa_group_segment_fixed_size 0
		.amdhsa_private_segment_fixed_size 0
		.amdhsa_kernarg_size 88
		.amdhsa_user_sgpr_count 2
		.amdhsa_user_sgpr_dispatch_ptr 0
		.amdhsa_user_sgpr_queue_ptr 0
		.amdhsa_user_sgpr_kernarg_segment_ptr 1
		.amdhsa_user_sgpr_dispatch_id 0
		.amdhsa_user_sgpr_private_segment_size 0
		.amdhsa_wavefront_size32 1
		.amdhsa_uses_dynamic_stack 0
		.amdhsa_enable_private_segment 0
		.amdhsa_system_sgpr_workgroup_id_x 1
		.amdhsa_system_sgpr_workgroup_id_y 0
		.amdhsa_system_sgpr_workgroup_id_z 0
		.amdhsa_system_sgpr_workgroup_info 0
		.amdhsa_system_vgpr_workitem_id 0
		.amdhsa_next_free_vgpr 186
		.amdhsa_next_free_sgpr 35
		.amdhsa_reserve_vcc 1
		.amdhsa_float_round_mode_32 0
		.amdhsa_float_round_mode_16_64 0
		.amdhsa_float_denorm_mode_32 3
		.amdhsa_float_denorm_mode_16_64 3
		.amdhsa_fp16_overflow 0
		.amdhsa_workgroup_processor_mode 1
		.amdhsa_memory_ordered 1
		.amdhsa_forward_progress 0
		.amdhsa_round_robin_scheduling 0
		.amdhsa_exception_fp_ieee_invalid_op 0
		.amdhsa_exception_fp_denorm_src 0
		.amdhsa_exception_fp_ieee_div_zero 0
		.amdhsa_exception_fp_ieee_overflow 0
		.amdhsa_exception_fp_ieee_underflow 0
		.amdhsa_exception_fp_ieee_inexact 0
		.amdhsa_exception_int_div_zero 0
	.end_amdhsa_kernel
	.text
.Lfunc_end0:
	.size	fft_rtc_fwd_len1248_factors_2_2_13_2_3_2_2_wgs_52_tpt_52_halfLds_half_ip_CI_sbrr_dirReg, .Lfunc_end0-fft_rtc_fwd_len1248_factors_2_2_13_2_3_2_2_wgs_52_tpt_52_halfLds_half_ip_CI_sbrr_dirReg
                                        ; -- End function
	.section	.AMDGPU.csdata,"",@progbits
; Kernel info:
; codeLenInByte = 24064
; NumSgprs: 37
; NumVgprs: 186
; ScratchSize: 0
; MemoryBound: 0
; FloatMode: 240
; IeeeMode: 1
; LDSByteSize: 0 bytes/workgroup (compile time only)
; SGPRBlocks: 4
; VGPRBlocks: 23
; NumSGPRsForWavesPerEU: 37
; NumVGPRsForWavesPerEU: 186
; Occupancy: 8
; WaveLimiterHint : 1
; COMPUTE_PGM_RSRC2:SCRATCH_EN: 0
; COMPUTE_PGM_RSRC2:USER_SGPR: 2
; COMPUTE_PGM_RSRC2:TRAP_HANDLER: 0
; COMPUTE_PGM_RSRC2:TGID_X_EN: 1
; COMPUTE_PGM_RSRC2:TGID_Y_EN: 0
; COMPUTE_PGM_RSRC2:TGID_Z_EN: 0
; COMPUTE_PGM_RSRC2:TIDIG_COMP_CNT: 0
	.text
	.p2alignl 7, 3214868480
	.fill 96, 4, 3214868480
	.type	__hip_cuid_a211641342a2a752,@object ; @__hip_cuid_a211641342a2a752
	.section	.bss,"aw",@nobits
	.globl	__hip_cuid_a211641342a2a752
__hip_cuid_a211641342a2a752:
	.byte	0                               ; 0x0
	.size	__hip_cuid_a211641342a2a752, 1

	.ident	"AMD clang version 19.0.0git (https://github.com/RadeonOpenCompute/llvm-project roc-6.4.0 25133 c7fe45cf4b819c5991fe208aaa96edf142730f1d)"
	.section	".note.GNU-stack","",@progbits
	.addrsig
	.addrsig_sym __hip_cuid_a211641342a2a752
	.amdgpu_metadata
---
amdhsa.kernels:
  - .args:
      - .actual_access:  read_only
        .address_space:  global
        .offset:         0
        .size:           8
        .value_kind:     global_buffer
      - .offset:         8
        .size:           8
        .value_kind:     by_value
      - .actual_access:  read_only
        .address_space:  global
        .offset:         16
        .size:           8
        .value_kind:     global_buffer
      - .actual_access:  read_only
        .address_space:  global
        .offset:         24
        .size:           8
        .value_kind:     global_buffer
      - .offset:         32
        .size:           8
        .value_kind:     by_value
      - .actual_access:  read_only
        .address_space:  global
        .offset:         40
        .size:           8
        .value_kind:     global_buffer
      - .actual_access:  read_only
        .address_space:  global
        .offset:         48
        .size:           8
        .value_kind:     global_buffer
      - .offset:         56
        .size:           4
        .value_kind:     by_value
      - .actual_access:  read_only
        .address_space:  global
        .offset:         64
        .size:           8
        .value_kind:     global_buffer
      - .actual_access:  read_only
        .address_space:  global
        .offset:         72
        .size:           8
        .value_kind:     global_buffer
      - .address_space:  global
        .offset:         80
        .size:           8
        .value_kind:     global_buffer
    .group_segment_fixed_size: 0
    .kernarg_segment_align: 8
    .kernarg_segment_size: 88
    .language:       OpenCL C
    .language_version:
      - 2
      - 0
    .max_flat_workgroup_size: 52
    .name:           fft_rtc_fwd_len1248_factors_2_2_13_2_3_2_2_wgs_52_tpt_52_halfLds_half_ip_CI_sbrr_dirReg
    .private_segment_fixed_size: 0
    .sgpr_count:     37
    .sgpr_spill_count: 0
    .symbol:         fft_rtc_fwd_len1248_factors_2_2_13_2_3_2_2_wgs_52_tpt_52_halfLds_half_ip_CI_sbrr_dirReg.kd
    .uniform_work_group_size: 1
    .uses_dynamic_stack: false
    .vgpr_count:     186
    .vgpr_spill_count: 0
    .wavefront_size: 32
    .workgroup_processor_mode: 1
amdhsa.target:   amdgcn-amd-amdhsa--gfx1201
amdhsa.version:
  - 1
  - 2
...

	.end_amdgpu_metadata
